;; amdgpu-corpus repo=ROCm/rocFFT kind=compiled arch=gfx1030 opt=O3
	.text
	.amdgcn_target "amdgcn-amd-amdhsa--gfx1030"
	.amdhsa_code_object_version 6
	.protected	bluestein_single_fwd_len1430_dim1_dp_op_CI_CI ; -- Begin function bluestein_single_fwd_len1430_dim1_dp_op_CI_CI
	.globl	bluestein_single_fwd_len1430_dim1_dp_op_CI_CI
	.p2align	8
	.type	bluestein_single_fwd_len1430_dim1_dp_op_CI_CI,@function
bluestein_single_fwd_len1430_dim1_dp_op_CI_CI: ; @bluestein_single_fwd_len1430_dim1_dp_op_CI_CI
; %bb.0:
	s_load_dwordx4 s[0:3], s[4:5], 0x28
	v_mul_u32_u24_e32 v1, 0x1cb, v0
	v_mov_b32_e32 v129, 0
	v_lshrrev_b32_e32 v1, 16, v1
	v_add_nc_u32_e32 v128, s6, v1
	s_waitcnt lgkmcnt(0)
	v_cmp_gt_u64_e32 vcc_lo, s[0:1], v[128:129]
	s_and_saveexec_b32 s0, vcc_lo
	s_cbranch_execz .LBB0_23
; %bb.1:
	s_clause 0x1
	s_load_dwordx2 s[14:15], s[4:5], 0x0
	s_load_dwordx2 s[12:13], s[4:5], 0x38
	v_mul_lo_u16 v1, 0x8f, v1
	v_sub_nc_u16 v0, v0, v1
	v_and_b32_e32 v198, 0xffff, v0
	v_cmp_gt_u16_e32 vcc_lo, 0x6e, v0
	v_lshlrev_b32_e32 v197, 4, v198
	s_and_saveexec_b32 s1, vcc_lo
	s_cbranch_execz .LBB0_3
; %bb.2:
	s_load_dwordx2 s[6:7], s[4:5], 0x18
	s_waitcnt lgkmcnt(0)
	v_add_co_u32 v90, s0, s14, v197
	v_add_co_ci_u32_e64 v91, null, s15, 0, s0
	v_add_co_u32 v8, s0, 0x800, v90
	v_add_co_ci_u32_e64 v9, s0, 0, v91, s0
	v_add_co_u32 v12, s0, 0x1000, v90
	v_add_co_ci_u32_e64 v13, s0, 0, v91, s0
	;; [unrolled: 2-line block ×3, first 2 shown]
	v_add_co_u32 v20, s0, 0x2000, v90
	s_load_dwordx4 s[8:11], s[6:7], 0x0
	v_add_co_ci_u32_e64 v21, s0, 0, v91, s0
	v_add_co_u32 v24, s0, 0x2800, v90
	v_add_co_ci_u32_e64 v25, s0, 0, v91, s0
	v_add_co_u32 v32, s0, 0x3000, v90
	;; [unrolled: 2-line block ×5, first 2 shown]
	s_waitcnt lgkmcnt(0)
	v_mad_u64_u32 v[18:19], null, s10, v128, 0
	v_mad_u64_u32 v[22:23], null, s8, v198, 0
	v_add_co_ci_u32_e64 v93, s0, 0, v91, s0
	s_mul_i32 s6, s9, 0x6e0
	s_mul_hi_u32 s7, s8, 0x6e0
	v_mov_b32_e32 v10, v19
	s_add_i32 s7, s7, s6
	s_clause 0x1
	global_load_dwordx4 v[0:3], v197, s[14:15]
	global_load_dwordx4 v[4:7], v197, s[14:15] offset:1760
	v_mad_u64_u32 v[10:11], null, s11, v128, v[10:11]
	v_mov_b32_e32 v11, v23
	v_mad_u64_u32 v[26:27], null, s9, v198, v[11:12]
	v_mov_b32_e32 v19, v10
	s_clause 0x1
	global_load_dwordx4 v[8:11], v[8:9], off offset:1472
	global_load_dwordx4 v[12:15], v[12:13], off offset:1184
	v_mov_b32_e32 v23, v26
	v_lshlrev_b64 v[26:27], 4, v[18:19]
	global_load_dwordx4 v[16:19], v[16:17], off offset:896
	v_lshlrev_b64 v[22:23], 4, v[22:23]
	v_add_co_u32 v26, s0, s2, v26
	v_add_co_ci_u32_e64 v27, s0, s3, v27, s0
	s_mul_i32 s2, s8, 0x6e0
	v_add_co_u32 v40, s0, v26, v22
	v_add_co_ci_u32_e64 v41, s0, v27, v23, s0
	global_load_dwordx4 v[20:23], v[20:21], off offset:608
	v_add_co_u32 v44, s0, v40, s2
	v_add_co_ci_u32_e64 v45, s0, s7, v41, s0
	global_load_dwordx4 v[24:27], v[24:25], off offset:320
	v_add_co_u32 v48, s0, v44, s2
	v_add_co_ci_u32_e64 v49, s0, s7, v45, s0
	s_clause 0x1
	global_load_dwordx4 v[28:31], v[32:33], off offset:32
	global_load_dwordx4 v[32:35], v[32:33], off offset:1792
	v_add_co_u32 v52, s0, v48, s2
	v_add_co_ci_u32_e64 v53, s0, s7, v49, s0
	global_load_dwordx4 v[36:39], v[36:37], off offset:1504
	v_add_co_u32 v56, s0, v52, s2
	v_add_co_ci_u32_e64 v57, s0, s7, v53, s0
	s_clause 0x1
	global_load_dwordx4 v[40:43], v[40:41], off
	global_load_dwordx4 v[44:47], v[44:45], off
	v_add_co_u32 v60, s0, v56, s2
	v_add_co_ci_u32_e64 v61, s0, s7, v57, s0
	s_clause 0x1
	global_load_dwordx4 v[48:51], v[48:49], off
	global_load_dwordx4 v[52:55], v[52:53], off
	v_add_co_u32 v64, s0, v60, s2
	v_add_co_ci_u32_e64 v65, s0, s7, v61, s0
	global_load_dwordx4 v[56:59], v[56:57], off
	v_add_co_u32 v68, s0, v64, s2
	v_add_co_ci_u32_e64 v69, s0, s7, v65, s0
	;; [unrolled: 3-line block ×3, first 2 shown]
	v_add_co_u32 v76, s0, v72, s2
	v_add_co_ci_u32_e64 v77, s0, s7, v73, s0
	v_add_co_u32 v86, s0, v76, s2
	v_add_co_ci_u32_e64 v87, s0, s7, v77, s0
	global_load_dwordx4 v[64:67], v[64:65], off
	global_load_dwordx4 v[68:71], v[68:69], off
	;; [unrolled: 1-line block ×5, first 2 shown]
	v_add_co_u32 v88, s0, v86, s2
	v_add_co_ci_u32_e64 v89, s0, s7, v87, s0
	v_add_co_u32 v96, s0, 0x5000, v90
	v_add_co_ci_u32_e64 v97, s0, 0, v91, s0
	;; [unrolled: 2-line block ×3, first 2 shown]
	global_load_dwordx4 v[84:87], v[84:85], off offset:1216
	global_load_dwordx4 v[88:91], v[88:89], off
	s_clause 0x1
	global_load_dwordx4 v[92:95], v[92:93], off offset:928
	global_load_dwordx4 v[96:99], v[96:97], off offset:640
	global_load_dwordx4 v[100:103], v[100:101], off
	s_waitcnt vmcnt(15)
	v_mul_f64 v[104:105], v[42:43], v[2:3]
	v_mul_f64 v[2:3], v[40:41], v[2:3]
	s_waitcnt vmcnt(14)
	v_mul_f64 v[106:107], v[46:47], v[6:7]
	v_mul_f64 v[6:7], v[44:45], v[6:7]
	;; [unrolled: 3-line block ×5, first 2 shown]
	v_fma_f64 v[40:41], v[40:41], v[0:1], v[104:105]
	s_waitcnt vmcnt(10)
	v_mul_f64 v[104:105], v[62:63], v[22:23]
	v_mul_f64 v[22:23], v[60:61], v[22:23]
	v_fma_f64 v[42:43], v[42:43], v[0:1], -v[2:3]
	v_fma_f64 v[0:1], v[44:45], v[4:5], v[106:107]
	v_fma_f64 v[2:3], v[46:47], v[4:5], -v[6:7]
	s_waitcnt vmcnt(9)
	v_mul_f64 v[44:45], v[66:67], v[26:27]
	v_mul_f64 v[26:27], v[64:65], v[26:27]
	s_waitcnt vmcnt(8)
	v_mul_f64 v[46:47], v[70:71], v[30:31]
	v_mul_f64 v[30:31], v[68:69], v[30:31]
	;; [unrolled: 3-line block ×4, first 2 shown]
	v_fma_f64 v[4:5], v[48:49], v[8:9], v[108:109]
	v_fma_f64 v[6:7], v[50:51], v[8:9], -v[10:11]
	v_fma_f64 v[8:9], v[52:53], v[12:13], v[110:111]
	v_fma_f64 v[10:11], v[54:55], v[12:13], -v[14:15]
	v_fma_f64 v[12:13], v[56:57], v[16:17], v[112:113]
	s_waitcnt vmcnt(4)
	v_mul_f64 v[116:117], v[82:83], v[86:87]
	v_mul_f64 v[86:87], v[80:81], v[86:87]
	s_waitcnt vmcnt(2)
	v_mul_f64 v[118:119], v[90:91], v[94:95]
	v_mul_f64 v[94:95], v[88:89], v[94:95]
	s_waitcnt vmcnt(0)
	v_mul_f64 v[120:121], v[102:103], v[98:99]
	v_mul_f64 v[98:99], v[100:101], v[98:99]
	v_fma_f64 v[14:15], v[58:59], v[16:17], -v[18:19]
	v_fma_f64 v[16:17], v[60:61], v[20:21], v[104:105]
	v_fma_f64 v[18:19], v[62:63], v[20:21], -v[22:23]
	v_fma_f64 v[20:21], v[64:65], v[24:25], v[44:45]
	;; [unrolled: 2-line block ×8, first 2 shown]
	v_fma_f64 v[50:51], v[102:103], v[96:97], -v[98:99]
	ds_write_b128 v197, v[40:43]
	ds_write_b128 v197, v[0:3] offset:1760
	ds_write_b128 v197, v[4:7] offset:3520
	;; [unrolled: 1-line block ×12, first 2 shown]
.LBB0_3:
	s_or_b32 exec_lo, exec_lo, s1
	s_waitcnt lgkmcnt(0)
	s_barrier
	buffer_gl0_inv
                                        ; implicit-def: $vgpr16_vgpr17
                                        ; implicit-def: $vgpr48_vgpr49
                                        ; implicit-def: $vgpr44_vgpr45
                                        ; implicit-def: $vgpr40_vgpr41
                                        ; implicit-def: $vgpr36_vgpr37
                                        ; implicit-def: $vgpr8_vgpr9
                                        ; implicit-def: $vgpr0_vgpr1
                                        ; implicit-def: $vgpr4_vgpr5
                                        ; implicit-def: $vgpr12_vgpr13
                                        ; implicit-def: $vgpr32_vgpr33
                                        ; implicit-def: $vgpr28_vgpr29
                                        ; implicit-def: $vgpr24_vgpr25
                                        ; implicit-def: $vgpr20_vgpr21
	s_and_saveexec_b32 s0, vcc_lo
	s_cbranch_execz .LBB0_5
; %bb.4:
	ds_read_b128 v[16:19], v197
	ds_read_b128 v[48:51], v197 offset:1760
	ds_read_b128 v[44:47], v197 offset:3520
	;; [unrolled: 1-line block ×12, first 2 shown]
.LBB0_5:
	s_or_b32 exec_lo, exec_lo, s0
	s_waitcnt lgkmcnt(11)
	v_add_f64 v[52:53], v[16:17], v[48:49]
	v_add_f64 v[54:55], v[18:19], v[50:51]
	s_waitcnt lgkmcnt(2)
	v_add_f64 v[64:65], v[40:41], v[28:29]
	v_add_f64 v[66:67], v[42:43], v[30:31]
	v_add_f64 v[68:69], v[40:41], -v[28:29]
	v_add_f64 v[70:71], v[42:43], -v[30:31]
	;; [unrolled: 1-line block ×4, first 2 shown]
	s_waitcnt lgkmcnt(0)
	v_add_f64 v[56:57], v[48:49], v[20:21]
	v_add_f64 v[58:59], v[50:51], v[22:23]
	v_add_f64 v[48:49], v[48:49], -v[20:21]
	v_add_f64 v[50:51], v[50:51], -v[22:23]
	s_mov_b32 s26, 0x42a4c3d2
	s_mov_b32 s16, 0x2ef20147
	;; [unrolled: 1-line block ×6, first 2 shown]
	v_add_f64 v[60:61], v[44:45], v[24:25]
	v_add_f64 v[62:63], v[46:47], v[26:27]
	s_mov_b32 s0, 0xe00740e9
	s_mov_b32 s2, 0x1ea71119
	v_add_f64 v[52:53], v[52:53], v[44:45]
	v_add_f64 v[54:55], v[54:55], v[46:47]
	v_add_f64 v[44:45], v[44:45], -v[24:25]
	v_add_f64 v[46:47], v[46:47], -v[26:27]
	s_mov_b32 s30, 0x66966769
	s_mov_b32 s8, 0xb2365da1
	;; [unrolled: 1-line block ×6, first 2 shown]
	v_mul_f64 v[78:79], v[48:49], s[10:11]
	v_mul_f64 v[76:77], v[50:51], s[10:11]
	;; [unrolled: 1-line block ×5, first 2 shown]
	s_mov_b32 s31, 0xbfefc445
	s_mov_b32 s9, 0xbfd6b1d8
	;; [unrolled: 1-line block ×7, first 2 shown]
	v_add_f64 v[40:41], v[52:53], v[40:41]
	v_add_f64 v[42:43], v[54:55], v[42:43]
	;; [unrolled: 1-line block ×4, first 2 shown]
	s_mov_b32 s34, s22
	s_mov_b32 s24, s30
	;; [unrolled: 1-line block ×4, first 2 shown]
	v_mul_f64 v[84:85], v[50:51], s[30:31]
	v_mul_f64 v[86:87], v[48:49], s[30:31]
	;; [unrolled: 1-line block ×14, first 2 shown]
	v_add_f64 v[36:37], v[40:41], v[36:37]
	v_add_f64 v[38:39], v[42:43], v[38:39]
	v_mul_f64 v[40:41], v[44:45], s[26:27]
	v_mul_f64 v[42:43], v[46:47], s[16:17]
	;; [unrolled: 1-line block ×17, first 2 shown]
	v_fma_f64 v[137:138], v[56:57], s[0:1], -v[76:77]
	v_fma_f64 v[139:140], v[58:59], s[0:1], v[78:79]
	v_fma_f64 v[76:77], v[56:57], s[0:1], v[76:77]
	v_add_f64 v[36:37], v[36:37], v[8:9]
	v_add_f64 v[38:39], v[38:39], v[10:11]
	v_fma_f64 v[78:79], v[58:59], s[0:1], -v[78:79]
	v_fma_f64 v[141:142], v[56:57], s[2:3], -v[80:81]
	v_fma_f64 v[143:144], v[58:59], s[2:3], v[82:83]
	v_fma_f64 v[80:81], v[56:57], s[2:3], v[80:81]
	v_fma_f64 v[82:83], v[58:59], s[2:3], -v[82:83]
	v_fma_f64 v[149:150], v[56:57], s[8:9], -v[88:89]
	s_mov_b32 s6, 0xebaa3ed8
	s_mov_b32 s18, 0xd0032e0c
	;; [unrolled: 1-line block ×6, first 2 shown]
	v_fma_f64 v[145:146], v[56:57], s[6:7], -v[84:85]
	v_fma_f64 v[147:148], v[58:59], s[6:7], v[86:87]
	v_fma_f64 v[84:85], v[56:57], s[6:7], v[84:85]
	v_fma_f64 v[86:87], v[58:59], s[6:7], -v[86:87]
	v_fma_f64 v[151:152], v[58:59], s[8:9], v[90:91]
	v_fma_f64 v[88:89], v[56:57], s[8:9], v[88:89]
	v_fma_f64 v[90:91], v[58:59], s[8:9], -v[90:91]
	v_fma_f64 v[153:154], v[56:57], s[18:19], -v[92:93]
	v_add_f64 v[36:37], v[36:37], v[0:1]
	v_add_f64 v[38:39], v[38:39], v[2:3]
	v_fma_f64 v[155:156], v[58:59], s[18:19], v[94:95]
	v_fma_f64 v[92:93], v[56:57], s[18:19], v[92:93]
	v_fma_f64 v[94:95], v[58:59], s[18:19], -v[94:95]
	v_fma_f64 v[157:158], v[56:57], s[20:21], -v[50:51]
	v_fma_f64 v[159:160], v[58:59], s[20:21], v[48:49]
	v_fma_f64 v[50:51], v[56:57], s[20:21], v[50:51]
	v_fma_f64 v[48:49], v[58:59], s[20:21], -v[48:49]
	v_fma_f64 v[56:57], v[60:61], s[2:3], -v[96:97]
	;; [unrolled: 4-line block ×5, first 2 shown]
	v_add_f64 v[36:37], v[36:37], v[4:5]
	v_add_f64 v[38:39], v[38:39], v[6:7]
	v_fma_f64 v[171:172], v[62:63], s[18:19], v[106:107]
	v_fma_f64 v[104:105], v[60:61], s[18:19], v[104:105]
	v_fma_f64 v[106:107], v[62:63], s[18:19], -v[106:107]
	v_fma_f64 v[173:174], v[60:61], s[6:7], -v[108:109]
	v_fma_f64 v[175:176], v[62:63], s[6:7], v[110:111]
	v_fma_f64 v[108:109], v[60:61], s[6:7], v[108:109]
	v_fma_f64 v[110:111], v[62:63], s[6:7], -v[110:111]
	v_fma_f64 v[177:178], v[64:65], s[6:7], -v[112:113]
	v_fma_f64 v[112:113], v[64:65], s[6:7], v[112:113]
	v_fma_f64 v[179:180], v[64:65], s[20:21], -v[114:115]
	v_fma_f64 v[114:115], v[64:65], s[20:21], v[114:115]
	;; [unrolled: 2-line block ×5, first 2 shown]
	v_fma_f64 v[187:188], v[66:67], s[6:7], v[122:123]
	v_fma_f64 v[122:123], v[66:67], s[6:7], -v[122:123]
	v_fma_f64 v[189:190], v[66:67], s[20:21], v[124:125]
	v_add_f64 v[36:37], v[36:37], v[12:13]
	v_add_f64 v[38:39], v[38:39], v[14:15]
	v_fma_f64 v[124:125], v[66:67], s[20:21], -v[124:125]
	v_fma_f64 v[191:192], v[66:67], s[8:9], v[126:127]
	v_fma_f64 v[126:127], v[66:67], s[8:9], -v[126:127]
	v_fma_f64 v[193:194], v[66:67], s[2:3], v[129:130]
	;; [unrolled: 2-line block ×3, first 2 shown]
	v_fma_f64 v[131:132], v[66:67], s[18:19], -v[131:132]
	v_fma_f64 v[203:204], v[60:61], s[0:1], -v[46:47]
	v_fma_f64 v[46:47], v[60:61], s[0:1], v[46:47]
	v_fma_f64 v[60:61], v[62:63], s[0:1], v[44:45]
	v_fma_f64 v[44:45], v[62:63], s[0:1], -v[44:45]
	v_fma_f64 v[62:63], v[64:65], s[0:1], -v[70:71]
	v_fma_f64 v[64:65], v[64:65], s[0:1], v[70:71]
	v_fma_f64 v[70:71], v[66:67], s[0:1], v[68:69]
	v_fma_f64 v[66:67], v[66:67], s[0:1], -v[68:69]
	v_add_f64 v[68:69], v[16:17], v[76:77]
	v_add_f64 v[76:77], v[18:19], v[78:79]
	;; [unrolled: 1-line block ×11, first 2 shown]
	v_mul_f64 v[133:134], v[74:75], s[16:17]
	v_add_f64 v[139:140], v[16:17], v[145:146]
	v_add_f64 v[141:142], v[18:19], v[147:148]
	;; [unrolled: 1-line block ×12, first 2 shown]
	v_mul_f64 v[135:136], v[72:73], s[16:17]
	v_add_f64 v[42:43], v[42:43], v[80:81]
	v_add_f64 v[28:29], v[32:33], v[28:29]
	;; [unrolled: 1-line block ×25, first 2 shown]
	v_add_f64 v[94:95], v[8:9], -v[12:13]
	v_add_f64 v[34:35], v[60:61], v[34:35]
	v_add_f64 v[16:17], v[46:47], v[16:17]
	;; [unrolled: 1-line block ×4, first 2 shown]
	v_fma_f64 v[199:200], v[52:53], s[8:9], -v[133:134]
	v_add_f64 v[44:45], v[112:113], v[48:49]
	v_add_f64 v[48:49], v[179:180], v[50:51]
	;; [unrolled: 1-line block ×4, first 2 shown]
	v_fma_f64 v[201:202], v[54:55], s[8:9], v[135:136]
	v_add_f64 v[60:61], v[181:182], v[68:69]
	v_add_f64 v[68:69], v[191:192], v[76:77]
	;; [unrolled: 1-line block ×7, first 2 shown]
	v_fma_f64 v[86:87], v[54:55], s[8:9], -v[135:136]
	v_add_f64 v[80:81], v[129:130], v[92:93]
	v_add_f64 v[40:41], v[24:25], v[20:21]
	;; [unrolled: 1-line block ×3, first 2 shown]
	v_fma_f64 v[20:21], v[52:53], s[8:9], v[133:134]
	v_mul_f64 v[22:23], v[74:75], s[34:35]
	v_add_f64 v[24:25], v[62:63], v[82:83]
	v_mul_f64 v[62:63], v[72:73], s[34:35]
	v_add_f64 v[26:27], v[70:71], v[84:85]
	v_add_f64 v[70:71], v[118:119], v[90:91]
	v_mul_f64 v[82:83], v[74:75], s[10:11]
	v_mul_f64 v[84:85], v[72:73], s[10:11]
	;; [unrolled: 1-line block ×4, first 2 shown]
	v_add_f64 v[92:93], v[10:11], -v[14:15]
	s_mov_b32 s35, 0x3fcea1e5
	s_mov_b32 s34, s28
	;; [unrolled: 1-line block ×4, first 2 shown]
	v_add_f64 v[36:37], v[177:178], v[36:37]
	v_add_f64 v[38:39], v[187:188], v[38:39]
	;; [unrolled: 1-line block ×3, first 2 shown]
	v_mul_f64 v[98:99], v[74:75], s[34:35]
	v_mul_f64 v[100:101], v[72:73], s[34:35]
	v_add_f64 v[46:47], v[86:87], v[46:47]
	v_mul_f64 v[74:75], v[74:75], s[30:31]
	v_add_f64 v[20:21], v[20:21], v[44:45]
	v_fma_f64 v[44:45], v[52:53], s[18:19], -v[22:23]
	v_fma_f64 v[22:23], v[52:53], s[18:19], v[22:23]
	v_fma_f64 v[96:97], v[54:55], s[18:19], v[62:63]
	v_fma_f64 v[62:63], v[54:55], s[18:19], -v[62:63]
	v_mul_f64 v[72:73], v[72:73], s[30:31]
	v_fma_f64 v[102:103], v[52:53], s[0:1], -v[82:83]
	v_fma_f64 v[104:105], v[54:55], s[0:1], v[84:85]
	v_fma_f64 v[82:83], v[52:53], s[0:1], v[82:83]
	v_fma_f64 v[84:85], v[54:55], s[0:1], -v[84:85]
	v_fma_f64 v[86:87], v[52:53], s[6:7], -v[88:89]
	v_add_f64 v[8:9], v[8:9], v[12:13]
	v_add_f64 v[10:11], v[10:11], v[14:15]
	v_mul_f64 v[12:13], v[92:93], s[22:23]
	v_mul_f64 v[14:15], v[94:95], s[22:23]
	v_add_f64 v[30:31], v[175:176], v[149:150]
	v_add_f64 v[32:33], v[203:204], v[32:33]
	;; [unrolled: 1-line block ×7, first 2 shown]
	v_fma_f64 v[106:107], v[54:55], s[6:7], v[90:91]
	v_add_f64 v[44:45], v[44:45], v[48:49]
	v_add_f64 v[22:23], v[22:23], v[56:57]
	;; [unrolled: 1-line block ×3, first 2 shown]
	v_fma_f64 v[50:51], v[52:53], s[6:7], v[88:89]
	v_fma_f64 v[88:89], v[54:55], s[6:7], -v[90:91]
	v_fma_f64 v[90:91], v[52:53], s[20:21], -v[98:99]
	v_fma_f64 v[96:97], v[54:55], s[20:21], v[100:101]
	v_add_f64 v[56:57], v[62:63], v[58:59]
	v_add_f64 v[58:59], v[102:103], v[60:61]
	;; [unrolled: 1-line block ×3, first 2 shown]
	v_fma_f64 v[62:63], v[52:53], s[20:21], v[98:99]
	v_fma_f64 v[68:69], v[54:55], s[20:21], -v[100:101]
	v_fma_f64 v[98:99], v[52:53], s[2:3], -v[74:75]
	v_fma_f64 v[100:101], v[54:55], s[2:3], v[72:73]
	v_add_f64 v[76:77], v[82:83], v[76:77]
	v_add_f64 v[78:79], v[84:85], v[78:79]
	v_fma_f64 v[52:53], v[52:53], s[2:3], v[74:75]
	v_fma_f64 v[54:55], v[54:55], s[2:3], -v[72:73]
	v_add_f64 v[24:25], v[86:87], v[24:25]
	v_fma_f64 v[72:73], v[8:9], s[18:19], -v[12:13]
	v_fma_f64 v[74:75], v[10:11], s[18:19], v[14:15]
	v_mul_f64 v[82:83], v[92:93], s[24:25]
	v_mul_f64 v[84:85], v[94:95], s[24:25]
	v_fma_f64 v[12:13], v[8:9], s[18:19], v[12:13]
	v_fma_f64 v[14:15], v[10:11], s[18:19], -v[14:15]
	v_add_f64 v[50:51], v[50:51], v[64:65]
	v_add_f64 v[64:65], v[88:89], v[66:67]
	v_mul_f64 v[66:67], v[92:93], s[26:27]
	v_mul_f64 v[86:87], v[94:95], s[26:27]
	v_add_f64 v[30:31], v[193:194], v[30:31]
	v_add_f64 v[32:33], v[185:186], v[32:33]
	;; [unrolled: 1-line block ×6, first 2 shown]
	v_mul_f64 v[70:71], v[92:93], s[34:35]
	v_mul_f64 v[80:81], v[94:95], s[34:35]
	;; [unrolled: 1-line block ×3, first 2 shown]
	v_add_f64 v[16:17], v[52:53], v[16:17]
	v_add_f64 v[18:19], v[54:55], v[18:19]
	v_add_f64 v[52:53], v[2:3], -v[6:7]
	v_add_f64 v[54:55], v[0:1], -v[4:5]
	v_add_f64 v[36:37], v[72:73], v[36:37]
	v_add_f64 v[38:39], v[74:75], v[38:39]
	v_fma_f64 v[72:73], v[8:9], s[6:7], -v[82:83]
	v_fma_f64 v[74:75], v[10:11], s[6:7], v[84:85]
	v_mul_f64 v[90:91], v[94:95], s[10:11]
	v_fma_f64 v[82:83], v[8:9], s[6:7], v[82:83]
	v_fma_f64 v[84:85], v[10:11], s[6:7], -v[84:85]
	v_add_f64 v[12:13], v[12:13], v[20:21]
	v_add_f64 v[14:15], v[14:15], v[46:47]
	v_fma_f64 v[20:21], v[8:9], s[2:3], -v[66:67]
	v_fma_f64 v[46:47], v[10:11], s[2:3], v[86:87]
	v_mul_f64 v[92:93], v[92:93], s[16:17]
	v_mul_f64 v[94:95], v[94:95], s[16:17]
	v_add_f64 v[30:31], v[96:97], v[30:31]
	v_add_f64 v[32:33], v[98:99], v[32:33]
	;; [unrolled: 1-line block ×3, first 2 shown]
	v_fma_f64 v[66:67], v[8:9], s[2:3], v[66:67]
	v_fma_f64 v[86:87], v[10:11], s[2:3], -v[86:87]
	v_fma_f64 v[96:97], v[8:9], s[20:21], -v[70:71]
	v_fma_f64 v[98:99], v[10:11], s[20:21], v[80:81]
	v_add_f64 v[0:1], v[0:1], v[4:5]
	v_add_f64 v[2:3], v[2:3], v[6:7]
	v_mul_f64 v[4:5], v[52:53], s[28:29]
	v_mul_f64 v[6:7], v[54:55], s[28:29]
	v_fma_f64 v[70:71], v[8:9], s[20:21], v[70:71]
	v_fma_f64 v[80:81], v[10:11], s[20:21], -v[80:81]
	v_add_f64 v[44:45], v[72:73], v[44:45]
	v_add_f64 v[72:73], v[74:75], v[48:49]
	v_fma_f64 v[48:49], v[8:9], s[0:1], -v[88:89]
	v_fma_f64 v[74:75], v[10:11], s[0:1], v[90:91]
	v_add_f64 v[22:23], v[82:83], v[22:23]
	v_add_f64 v[56:57], v[84:85], v[56:57]
	v_fma_f64 v[82:83], v[8:9], s[0:1], v[88:89]
	v_fma_f64 v[84:85], v[10:11], s[0:1], -v[90:91]
	v_add_f64 v[20:21], v[20:21], v[58:59]
	v_add_f64 v[46:47], v[46:47], v[60:61]
	v_fma_f64 v[58:59], v[8:9], s[8:9], -v[92:93]
	v_fma_f64 v[60:61], v[10:11], s[8:9], v[94:95]
	v_fma_f64 v[8:9], v[8:9], s[8:9], v[92:93]
	v_fma_f64 v[10:11], v[10:11], s[8:9], -v[94:95]
	v_add_f64 v[26:27], v[106:107], v[26:27]
	v_add_f64 v[88:89], v[66:67], v[76:77]
	;; [unrolled: 1-line block ×3, first 2 shown]
	v_mul_f64 v[78:79], v[54:55], s[10:11]
	v_fma_f64 v[66:67], v[0:1], s[20:21], -v[4:5]
	v_fma_f64 v[76:77], v[2:3], s[20:21], v[6:7]
	v_add_f64 v[24:25], v[96:97], v[24:25]
	v_add_f64 v[92:93], v[80:81], v[64:65]
	v_mul_f64 v[64:65], v[52:53], s[10:11]
	v_mul_f64 v[80:81], v[54:55], s[22:23]
	v_add_f64 v[70:71], v[70:71], v[50:51]
	v_add_f64 v[30:31], v[74:75], v[30:31]
	v_mul_f64 v[74:75], v[52:53], s[22:23]
	v_add_f64 v[28:29], v[48:49], v[28:29]
	v_add_f64 v[94:95], v[82:83], v[62:63]
	v_mul_f64 v[62:63], v[52:53], s[30:31]
	v_mul_f64 v[82:83], v[54:55], s[30:31]
	v_add_f64 v[68:69], v[84:85], v[68:69]
	v_add_f64 v[32:33], v[58:59], v[32:33]
	;; [unrolled: 1-line block ×3, first 2 shown]
	v_mul_f64 v[58:59], v[52:53], s[16:17]
	v_mul_f64 v[60:61], v[54:55], s[16:17]
	v_add_f64 v[8:9], v[8:9], v[16:17]
	v_add_f64 v[10:11], v[10:11], v[18:19]
	v_mul_f64 v[16:17], v[52:53], s[24:25]
	v_mul_f64 v[18:19], v[54:55], s[24:25]
	v_add_f64 v[26:27], v[98:99], v[26:27]
	v_add_f64 v[48:49], v[66:67], v[36:37]
	;; [unrolled: 1-line block ×3, first 2 shown]
	v_fma_f64 v[4:5], v[0:1], s[20:21], v[4:5]
	v_fma_f64 v[6:7], v[2:3], s[20:21], -v[6:7]
	v_fma_f64 v[36:37], v[0:1], s[0:1], -v[64:65]
	v_fma_f64 v[38:39], v[2:3], s[0:1], v[78:79]
	v_fma_f64 v[52:53], v[0:1], s[0:1], v[64:65]
	v_fma_f64 v[54:55], v[2:3], s[0:1], -v[78:79]
	v_fma_f64 v[84:85], v[0:1], s[18:19], -v[74:75]
	v_fma_f64 v[90:91], v[2:3], s[18:19], v[80:81]
	;; [unrolled: 4-line block ×5, first 2 shown]
	v_fma_f64 v[0:1], v[0:1], s[6:7], v[16:17]
	v_fma_f64 v[2:3], v[2:3], s[6:7], -v[18:19]
	v_add_f64 v[80:81], v[4:5], v[12:13]
	v_add_f64 v[82:83], v[6:7], v[14:15]
	;; [unrolled: 1-line block ×22, first 2 shown]
	s_load_dwordx2 s[2:3], s[4:5], 0x8
	v_mul_lo_u16 v201, v198, 13
	s_barrier
	s_waitcnt lgkmcnt(0)
	buffer_gl0_inv
	s_and_saveexec_b32 s0, vcc_lo
	s_cbranch_execz .LBB0_7
; %bb.6:
	v_mov_b32_e32 v0, 4
	v_lshlrev_b32_sdwa v0, v0, v201 dst_sel:DWORD dst_unused:UNUSED_PAD src0_sel:DWORD src1_sel:WORD_0
	ds_write_b128 v0, v[40:43]
	ds_write_b128 v0, v[48:51] offset:16
	ds_write_b128 v0, v[64:67] offset:32
	;; [unrolled: 1-line block ×12, first 2 shown]
.LBB0_7:
	s_or_b32 exec_lo, exec_lo, s0
	s_load_dwordx2 s[4:5], s[4:5], 0x20
	v_cmp_gt_u16_e64 s0, 0x82, v198
	s_waitcnt lgkmcnt(0)
	s_barrier
	buffer_gl0_inv
	s_and_saveexec_b32 s1, s0
	s_cbranch_execz .LBB0_9
; %bb.8:
	ds_read_b128 v[40:43], v197
	ds_read_b128 v[48:51], v197 offset:2080
	ds_read_b128 v[64:67], v197 offset:4160
	;; [unrolled: 1-line block ×10, first 2 shown]
.LBB0_9:
	s_or_b32 exec_lo, exec_lo, s1
	v_and_b32_e32 v0, 0xff, v198
	s_mov_b32 s6, 0xf8bb580b
	s_mov_b32 s7, 0xbfe14ced
	;; [unrolled: 1-line block ×4, first 2 shown]
	v_mul_lo_u16 v0, 0x4f, v0
	s_mov_b32 s9, 0x3feaeb8c
	s_mov_b32 s25, 0xbfed1bb4
	;; [unrolled: 1-line block ×4, first 2 shown]
	v_lshrrev_b16 v199, 10, v0
	s_mov_b32 s17, 0x3fda9628
	s_mov_b32 s11, 0xbfefac9e
	;; [unrolled: 1-line block ×4, first 2 shown]
	v_mul_lo_u16 v0, v199, 13
	s_mov_b32 s21, 0xbfc2375f
	s_mov_b32 s19, 0xbfe82f19
	;; [unrolled: 1-line block ×4, first 2 shown]
	v_sub_nc_u16 v0, v198, v0
	s_mov_b32 s23, 0xbfe4f49e
	s_mov_b32 s27, 0xbfd207e7
	;; [unrolled: 1-line block ×4, first 2 shown]
	v_and_b32_e32 v200, 0xff, v0
	v_mul_u32_u24_e32 v0, 10, v200
	v_lshlrev_b32_e32 v32, 4, v0
	s_clause 0x9
	global_load_dwordx4 v[0:3], v32, s[2:3]
	global_load_dwordx4 v[20:23], v32, s[2:3] offset:144
	global_load_dwordx4 v[4:7], v32, s[2:3] offset:16
	;; [unrolled: 1-line block ×9, first 2 shown]
	s_waitcnt vmcnt(0) lgkmcnt(0)
	s_barrier
	buffer_gl0_inv
	v_mul_f64 v[92:93], v[50:51], v[2:3]
	v_mul_f64 v[94:95], v[48:49], v[2:3]
	;; [unrolled: 1-line block ×11, first 2 shown]
	v_fma_f64 v[153:154], v[48:49], v[0:1], -v[92:93]
	v_fma_f64 v[155:156], v[50:51], v[0:1], v[94:95]
	v_fma_f64 v[50:51], v[90:91], v[20:21], v[96:97]
	v_fma_f64 v[48:49], v[88:89], v[20:21], -v[98:99]
	v_mul_f64 v[92:93], v[62:63], v[14:15]
	v_mul_f64 v[94:95], v[60:61], v[14:15]
	;; [unrolled: 1-line block ×4, first 2 shown]
	v_fma_f64 v[145:146], v[64:65], v[4:5], -v[100:101]
	v_fma_f64 v[149:150], v[66:67], v[4:5], v[102:103]
	v_fma_f64 v[66:67], v[86:87], v[8:9], v[106:107]
	v_fma_f64 v[64:65], v[84:85], v[8:9], -v[104:105]
	v_mul_f64 v[84:85], v[58:59], v[26:27]
	v_mul_f64 v[86:87], v[56:57], v[26:27]
	;; [unrolled: 1-line block ×4, first 2 shown]
	v_fma_f64 v[147:148], v[46:47], v[36:37], v[108:109]
	v_fma_f64 v[108:109], v[52:53], v[32:33], -v[114:115]
	v_fma_f64 v[114:115], v[54:55], v[32:33], v[116:117]
	v_add_f64 v[90:91], v[155:156], -v[50:51]
	v_add_f64 v[88:89], v[153:154], -v[48:49]
	v_fma_f64 v[112:113], v[60:61], v[12:13], -v[92:93]
	v_fma_f64 v[118:119], v[62:63], v[12:13], v[94:95]
	v_fma_f64 v[60:61], v[72:73], v[16:17], -v[96:97]
	v_fma_f64 v[62:63], v[74:75], v[16:17], v[98:99]
	v_add_f64 v[72:73], v[153:154], v[48:49]
	v_add_f64 v[100:101], v[155:156], v[50:51]
	v_add_f64 v[94:95], v[149:150], -v[66:67]
	v_add_f64 v[74:75], v[145:146], -v[64:65]
	v_mul_f64 v[98:99], v[46:47], v[38:39]
	v_fma_f64 v[131:132], v[56:57], v[24:25], -v[84:85]
	v_fma_f64 v[133:134], v[58:59], v[24:25], v[86:87]
	v_fma_f64 v[56:57], v[68:69], v[28:29], -v[102:103]
	v_fma_f64 v[58:59], v[70:71], v[28:29], v[104:105]
	v_add_f64 v[68:69], v[145:146], v[64:65]
	v_add_f64 v[110:111], v[149:150], v[66:67]
	v_add_f64 v[139:140], v[147:148], -v[114:115]
	v_add_f64 v[151:152], v[147:148], v[114:115]
	v_mul_f64 v[92:93], v[90:91], s[6:7]
	v_mul_f64 v[96:97], v[88:89], s[6:7]
	v_add_f64 v[70:71], v[112:113], -v[60:61]
	v_add_f64 v[106:107], v[118:119], -v[62:63]
	v_add_f64 v[46:47], v[112:113], v[60:61]
	v_add_f64 v[135:136], v[118:119], v[62:63]
	v_mul_f64 v[102:103], v[94:95], s[24:25]
	v_mul_f64 v[104:105], v[74:75], s[24:25]
	v_fma_f64 v[143:144], v[44:45], v[36:37], -v[98:99]
	v_add_f64 v[44:45], v[131:132], -v[56:57]
	v_add_f64 v[124:125], v[133:134], -v[58:59]
	v_add_f64 v[54:55], v[131:132], v[56:57]
	v_add_f64 v[141:142], v[133:134], v[58:59]
	v_fma_f64 v[84:85], v[72:73], s[8:9], v[92:93]
	v_fma_f64 v[86:87], v[100:101], s[8:9], -v[96:97]
	v_mul_f64 v[120:121], v[70:71], s[10:11]
	v_mul_f64 v[116:117], v[106:107], s[10:11]
	v_fma_f64 v[98:99], v[68:69], s[16:17], v[102:103]
	v_fma_f64 v[122:123], v[110:111], s[16:17], -v[104:105]
	v_add_f64 v[52:53], v[143:144], -v[108:109]
	v_mul_f64 v[137:138], v[44:45], s[18:19]
	v_mul_f64 v[126:127], v[124:125], s[18:19]
	v_add_f64 v[84:85], v[40:41], v[84:85]
	v_add_f64 v[86:87], v[42:43], v[86:87]
	v_fma_f64 v[159:160], v[135:136], s[20:21], -v[120:121]
	v_fma_f64 v[157:158], v[46:47], s[20:21], v[116:117]
	v_mul_f64 v[129:130], v[52:53], s[26:27]
	v_fma_f64 v[163:164], v[141:142], s[22:23], -v[137:138]
	v_fma_f64 v[161:162], v[54:55], s[22:23], v[126:127]
	v_add_f64 v[84:85], v[98:99], v[84:85]
	v_add_f64 v[86:87], v[122:123], v[86:87]
	;; [unrolled: 1-line block ×3, first 2 shown]
	v_mul_f64 v[122:123], v[139:140], s[26:27]
	v_add_f64 v[84:85], v[157:158], v[84:85]
	v_add_f64 v[86:87], v[159:160], v[86:87]
	v_fma_f64 v[159:160], v[151:152], s[28:29], -v[129:130]
	v_fma_f64 v[157:158], v[98:99], s[28:29], v[122:123]
	v_add_f64 v[84:85], v[161:162], v[84:85]
	v_add_f64 v[86:87], v[163:164], v[86:87]
	;; [unrolled: 1-line block ×4, first 2 shown]
	s_and_saveexec_b32 s1, s0
	s_cbranch_execz .LBB0_11
; %bb.10:
	v_mul_f64 v[161:162], v[100:101], s[28:29]
	v_mul_f64 v[163:164], v[90:91], s[26:27]
	;; [unrolled: 1-line block ×4, first 2 shown]
	s_mov_b32 s35, 0x3fd207e7
	s_mov_b32 s31, 0x3fe14ced
	;; [unrolled: 1-line block ×8, first 2 shown]
	v_add_f64 v[155:156], v[42:43], v[155:156]
	v_add_f64 v[153:154], v[40:41], v[153:154]
	v_mul_f64 v[177:178], v[110:111], s[8:9]
	v_mul_f64 v[189:190], v[94:95], s[30:31]
	;; [unrolled: 1-line block ×8, first 2 shown]
	v_fma_f64 v[191:192], v[88:89], s[34:35], v[161:162]
	v_fma_f64 v[193:194], v[72:73], s[28:29], v[163:164]
	v_fma_f64 v[163:164], v[72:73], s[28:29], -v[163:164]
	v_fma_f64 v[212:213], v[88:89], s[36:37], v[179:180]
	v_fma_f64 v[216:217], v[72:73], s[22:23], v[181:182]
	;; [unrolled: 1-line block ×4, first 2 shown]
	v_mul_f64 v[222:223], v[100:101], s[20:21]
	s_mov_b32 s41, 0x3fed1bb4
	s_mov_b32 s40, s24
	v_fma_f64 v[181:182], v[72:73], s[22:23], -v[181:182]
	v_mul_f64 v[228:229], v[124:125], s[40:41]
	v_add_f64 v[149:150], v[155:156], v[149:150]
	v_add_f64 v[145:146], v[153:154], v[145:146]
	v_fma_f64 v[218:219], v[74:75], s[6:7], v[177:178]
	v_fma_f64 v[220:221], v[68:69], s[8:9], v[189:190]
	v_fma_f64 v[189:190], v[68:69], s[8:9], -v[189:190]
	v_fma_f64 v[230:231], v[74:75], s[10:11], v[206:207]
	v_fma_f64 v[206:207], v[74:75], s[38:39], v[206:207]
	;; [unrolled: 1-line block ×5, first 2 shown]
	v_add_f64 v[191:192], v[42:43], v[191:192]
	v_add_f64 v[193:194], v[40:41], v[193:194]
	;; [unrolled: 1-line block ×7, first 2 shown]
	v_fma_f64 v[153:154], v[46:47], s[22:23], -v[208:209]
	v_fma_f64 v[208:209], v[46:47], s[8:9], v[224:225]
	v_fma_f64 v[232:233], v[70:71], s[36:37], v[202:203]
	;; [unrolled: 1-line block ×4, first 2 shown]
	v_add_f64 v[118:119], v[149:150], v[118:119]
	v_add_f64 v[112:113], v[145:146], v[112:113]
	v_mul_f64 v[167:168], v[100:101], s[8:9]
	v_mul_f64 v[165:166], v[72:73], s[8:9]
	;; [unrolled: 1-line block ×3, first 2 shown]
	v_fma_f64 v[214:215], v[68:69], s[20:21], -v[214:215]
	v_add_f64 v[181:182], v[40:41], v[181:182]
	v_mul_f64 v[171:172], v[110:111], s[16:17]
	v_mul_f64 v[169:170], v[68:69], s[16:17]
	;; [unrolled: 1-line block ×3, first 2 shown]
	v_add_f64 v[191:192], v[218:219], v[191:192]
	v_mul_f64 v[218:219], v[141:142], s[28:29]
	v_add_f64 v[163:164], v[189:190], v[163:164]
	v_fma_f64 v[189:190], v[70:71], s[30:31], v[210:211]
	v_fma_f64 v[210:211], v[70:71], s[6:7], v[210:211]
	v_add_f64 v[216:217], v[234:235], v[216:217]
	v_add_f64 v[179:180], v[206:207], v[179:180]
	v_add_f64 v[193:194], v[220:221], v[193:194]
	v_add_f64 v[161:162], v[177:178], v[161:162]
	v_mul_f64 v[177:178], v[110:111], s[28:29]
	v_mul_f64 v[220:221], v[124:125], s[26:27]
	v_add_f64 v[212:213], v[230:231], v[212:213]
	v_add_f64 v[118:119], v[118:119], v[133:134]
	;; [unrolled: 1-line block ×3, first 2 shown]
	v_mul_f64 v[133:134], v[90:91], s[24:25]
	v_fma_f64 v[206:207], v[54:55], s[16:17], v[228:229]
	v_add_f64 v[155:156], v[42:43], v[155:156]
	v_mul_f64 v[90:91], v[90:91], s[10:11]
	v_add_f64 v[96:97], v[96:97], v[167:168]
	v_mul_f64 v[110:111], v[110:111], s[22:23]
	v_add_f64 v[92:93], v[165:166], -v[92:93]
	v_fma_f64 v[224:225], v[46:47], s[8:9], -v[224:225]
	v_add_f64 v[181:182], v[214:215], v[181:182]
	v_mul_f64 v[175:176], v[135:136], s[20:21]
	v_add_f64 v[145:146], v[153:154], v[163:164]
	v_fma_f64 v[163:164], v[44:45], s[34:35], v[218:219]
	v_add_f64 v[104:105], v[104:105], v[171:172]
	v_add_f64 v[208:209], v[208:209], v[216:217]
	v_fma_f64 v[216:217], v[44:45], s[26:27], v[218:219]
	v_add_f64 v[179:180], v[210:211], v[179:180]
	v_add_f64 v[193:194], v[236:237], v[193:194]
	;; [unrolled: 1-line block ×3, first 2 shown]
	v_mul_f64 v[202:203], v[135:136], s[16:17]
	v_fma_f64 v[230:231], v[74:75], s[26:27], v[177:178]
	v_add_f64 v[118:119], v[118:119], v[147:148]
	v_add_f64 v[112:113], v[112:113], v[143:144]
	;; [unrolled: 1-line block ×3, first 2 shown]
	v_fma_f64 v[212:213], v[54:55], s[28:29], v[220:221]
	v_fma_f64 v[210:211], v[54:55], s[28:29], -v[220:221]
	v_fma_f64 v[220:221], v[88:89], s[24:25], v[100:101]
	v_mul_f64 v[218:219], v[94:95], s[34:35]
	v_mul_f64 v[94:95], v[94:95], s[18:19]
	v_fma_f64 v[143:144], v[72:73], s[16:17], -v[133:134]
	v_fma_f64 v[147:148], v[72:73], s[20:21], -v[90:91]
	v_fma_f64 v[90:91], v[72:73], s[20:21], v[90:91]
	v_fma_f64 v[72:73], v[72:73], s[16:17], v[133:134]
	v_add_f64 v[96:97], v[42:43], v[96:97]
	v_mul_f64 v[173:174], v[46:47], s[20:21]
	v_mul_f64 v[204:205], v[139:140], s[10:11]
	v_fma_f64 v[238:239], v[44:45], s[24:25], v[195:196]
	v_fma_f64 v[195:196], v[44:45], s[40:41], v[195:196]
	v_add_f64 v[179:180], v[216:217], v[179:180]
	v_fma_f64 v[216:217], v[88:89], s[10:11], v[222:223]
	v_add_f64 v[193:194], v[206:207], v[193:194]
	;; [unrolled: 2-line block ×4, first 2 shown]
	v_add_f64 v[108:109], v[112:113], v[108:109]
	v_fma_f64 v[133:134], v[74:75], s[34:35], v[177:178]
	v_mul_f64 v[135:136], v[135:136], s[28:29]
	v_add_f64 v[220:221], v[42:43], v[220:221]
	v_add_f64 v[102:103], v[169:170], -v[102:103]
	v_add_f64 v[92:93], v[40:41], v[92:93]
	v_add_f64 v[181:182], v[224:225], v[181:182]
	v_mul_f64 v[100:101], v[106:107], s[40:41]
	v_mul_f64 v[106:107], v[106:107], s[34:35]
	v_fma_f64 v[224:225], v[68:69], s[22:23], -v[94:95]
	v_add_f64 v[112:113], v[40:41], v[143:144]
	v_add_f64 v[118:119], v[40:41], v[147:148]
	v_fma_f64 v[143:144], v[68:69], s[28:29], v[218:219]
	v_add_f64 v[90:91], v[40:41], v[90:91]
	v_add_f64 v[40:41], v[40:41], v[72:73]
	v_mul_f64 v[159:160], v[141:142], s[22:23]
	v_add_f64 v[177:178], v[42:43], v[216:217]
	v_fma_f64 v[216:217], v[74:75], s[18:19], v[110:111]
	v_fma_f64 v[74:75], v[74:75], s[36:37], v[110:111]
	v_add_f64 v[155:156], v[206:207], v[155:156]
	v_fma_f64 v[206:207], v[68:69], s[28:29], -v[218:219]
	v_add_f64 v[42:43], v[42:43], v[88:89]
	v_fma_f64 v[68:69], v[68:69], s[22:23], v[94:95]
	v_add_f64 v[120:121], v[120:121], v[175:176]
	v_add_f64 v[96:97], v[104:105], v[96:97]
	;; [unrolled: 1-line block ×4, first 2 shown]
	v_mul_f64 v[157:158], v[54:55], s[22:23]
	v_fma_f64 v[153:154], v[98:99], s[20:21], v[204:205]
	v_add_f64 v[161:162], v[195:196], v[161:162]
	v_fma_f64 v[195:196], v[98:99], s[20:21], -v[204:205]
	v_mul_f64 v[204:205], v[141:142], s[8:9]
	v_fma_f64 v[72:73], v[70:71], s[40:41], v[202:203]
	v_mul_f64 v[110:111], v[141:142], s[20:21]
	v_add_f64 v[104:105], v[173:174], -v[116:117]
	v_add_f64 v[92:93], v[102:103], v[92:93]
	v_mul_f64 v[167:168], v[124:125], s[6:7]
	v_mul_f64 v[124:125], v[124:125], s[38:39]
	v_add_f64 v[88:89], v[133:134], v[177:178]
	v_fma_f64 v[133:134], v[70:71], s[34:35], v[135:136]
	v_add_f64 v[141:142], v[216:217], v[220:221]
	v_fma_f64 v[147:148], v[46:47], s[28:29], -v[106:107]
	v_add_f64 v[102:103], v[224:225], v[112:113]
	v_fma_f64 v[94:95], v[46:47], s[16:17], -v[100:101]
	v_add_f64 v[108:109], v[206:207], v[118:119]
	v_fma_f64 v[100:101], v[46:47], s[16:17], v[100:101]
	v_add_f64 v[90:91], v[143:144], v[90:91]
	v_fma_f64 v[70:71], v[70:71], s[26:27], v[135:136]
	;; [unrolled: 2-line block ×3, first 2 shown]
	v_add_f64 v[40:41], v[68:69], v[40:41]
	v_add_f64 v[118:119], v[137:138], v[159:160]
	;; [unrolled: 1-line block ×5, first 2 shown]
	v_mul_f64 v[183:184], v[98:99], s[28:29]
	v_mul_f64 v[185:186], v[151:152], s[28:29]
	v_add_f64 v[181:182], v[210:211], v[181:182]
	v_mul_f64 v[210:211], v[151:152], s[22:23]
	v_fma_f64 v[68:69], v[44:45], s[6:7], v[204:205]
	v_add_f64 v[72:73], v[72:73], v[88:89]
	v_fma_f64 v[112:113], v[44:45], s[38:39], v[110:111]
	v_add_f64 v[114:115], v[133:134], v[141:142]
	v_add_f64 v[120:121], v[157:158], -v[126:127]
	v_add_f64 v[60:61], v[104:105], v[92:93]
	v_mul_f64 v[88:89], v[151:152], s[8:9]
	v_mul_f64 v[106:107], v[139:140], s[30:31]
	v_fma_f64 v[116:117], v[54:55], s[20:21], -v[124:125]
	v_add_f64 v[62:63], v[147:148], v[102:103]
	v_mul_f64 v[165:166], v[139:140], s[18:19]
	v_fma_f64 v[74:75], v[54:55], s[8:9], -v[167:168]
	v_add_f64 v[92:93], v[94:95], v[108:109]
	v_mul_f64 v[226:227], v[151:152], s[16:17]
	v_mul_f64 v[214:215], v[139:140], s[40:41]
	;; [unrolled: 1-line block ×3, first 2 shown]
	v_fma_f64 v[228:229], v[54:55], s[16:17], -v[228:229]
	v_add_f64 v[191:192], v[232:233], v[191:192]
	v_fma_f64 v[94:95], v[54:55], s[8:9], v[167:168]
	v_add_f64 v[90:91], v[100:101], v[90:91]
	v_fma_f64 v[222:223], v[44:45], s[30:31], v[204:205]
	v_fma_f64 v[44:45], v[44:45], s[10:11], v[110:111]
	v_add_f64 v[42:43], v[70:71], v[42:43]
	v_fma_f64 v[54:55], v[54:55], s[20:21], v[124:125]
	v_add_f64 v[40:41], v[46:47], v[40:41]
	v_add_f64 v[96:97], v[118:119], v[96:97]
	;; [unrolled: 1-line block ×4, first 2 shown]
	v_fma_f64 v[70:71], v[52:53], s[18:19], v[210:211]
	v_add_f64 v[68:69], v[68:69], v[72:73]
	v_add_f64 v[108:109], v[112:113], v[114:115]
	;; [unrolled: 1-line block ×3, first 2 shown]
	v_add_f64 v[114:115], v[183:184], -v[122:123]
	v_add_f64 v[60:61], v[120:121], v[60:61]
	v_fma_f64 v[104:105], v[52:53], s[30:31], v[88:89]
	v_fma_f64 v[110:111], v[98:99], s[8:9], -v[106:107]
	v_add_f64 v[64:65], v[116:117], v[62:63]
	v_fma_f64 v[72:73], v[98:99], s[22:23], -v[165:166]
	v_add_f64 v[74:75], v[74:75], v[92:93]
	v_add_f64 v[163:164], v[163:164], v[189:190]
	v_fma_f64 v[189:190], v[98:99], s[16:17], v[214:215]
	v_add_f64 v[208:209], v[212:213], v[208:209]
	v_fma_f64 v[212:213], v[52:53], s[40:41], v[226:227]
	v_fma_f64 v[214:215], v[98:99], s[16:17], -v[214:215]
	v_fma_f64 v[149:150], v[52:53], s[38:39], v[187:188]
	v_fma_f64 v[187:188], v[52:53], s[10:11], v[187:188]
	v_add_f64 v[131:132], v[228:229], v[145:146]
	v_add_f64 v[191:192], v[238:239], v[191:192]
	v_fma_f64 v[145:146], v[52:53], s[24:25], v[226:227]
	v_fma_f64 v[92:93], v[98:99], s[22:23], v[165:166]
	v_add_f64 v[90:91], v[94:95], v[90:91]
	v_fma_f64 v[100:101], v[52:53], s[36:37], v[210:211]
	v_add_f64 v[102:103], v[222:223], v[155:156]
	;; [unrolled: 2-line block ×4, first 2 shown]
	v_add_f64 v[50:51], v[118:119], v[50:51]
	v_add_f64 v[48:49], v[56:57], v[48:49]
	;; [unrolled: 1-line block ×17, first 2 shown]
	v_mov_b32_e32 v92, 0x8f
	v_add_f64 v[74:75], v[100:101], v[102:103]
	v_add_f64 v[90:91], v[88:89], v[94:95]
	;; [unrolled: 1-line block ×3, first 2 shown]
	v_mul_u32_u24_sdwa v92, v199, v92 dst_sel:DWORD dst_unused:UNUSED_PAD src0_sel:WORD_0 src1_sel:DWORD
	v_add_lshl_u32 v92, v92, v200, 4
	ds_write_b128 v92, v[48:51]
	ds_write_b128 v92, v[68:71] offset:208
	ds_write_b128 v92, v[64:67] offset:416
	;; [unrolled: 1-line block ×10, first 2 shown]
.LBB0_11:
	s_or_b32 exec_lo, exec_lo, s1
	v_mad_u64_u32 v[40:41], null, 0x90, v198, s[2:3]
	s_load_dwordx4 s[4:7], s[4:5], 0x0
	s_waitcnt lgkmcnt(0)
	s_barrier
	buffer_gl0_inv
	s_mov_b32 s2, 0x134454ff
	s_mov_b32 s3, 0x3fee6f0e
	v_add_co_u32 v60, s1, 0x820, v40
	v_add_co_ci_u32_e64 v61, s1, 0, v41, s1
	v_add_co_u32 v42, s1, 0x800, v40
	v_add_co_ci_u32_e64 v43, s1, 0, v41, s1
	;; [unrolled: 2-line block ×3, first 2 shown]
	s_clause 0x8
	global_load_dwordx4 v[48:51], v[60:61], off offset:32
	global_load_dwordx4 v[44:47], v[42:43], off offset:96
	;; [unrolled: 1-line block ×9, first 2 shown]
	ds_read_b128 v[88:91], v197 offset:6864
	ds_read_b128 v[92:95], v197 offset:11440
	;; [unrolled: 1-line block ×9, first 2 shown]
	s_mov_b32 s17, 0xbfee6f0e
	s_mov_b32 s16, s2
	;; [unrolled: 1-line block ×10, first 2 shown]
	s_waitcnt vmcnt(8) lgkmcnt(8)
	v_mul_f64 v[124:125], v[90:91], v[50:51]
	v_mul_f64 v[126:127], v[88:89], v[50:51]
	s_waitcnt vmcnt(7) lgkmcnt(7)
	v_mul_f64 v[129:130], v[94:95], v[46:47]
	v_mul_f64 v[131:132], v[92:93], v[46:47]
	;; [unrolled: 3-line block ×8, first 2 shown]
	s_waitcnt vmcnt(0) lgkmcnt(0)
	v_mul_f64 v[157:158], v[120:121], v[62:63]
	v_fma_f64 v[124:125], v[88:89], v[48:49], -v[124:125]
	v_fma_f64 v[126:127], v[90:91], v[48:49], v[126:127]
	v_fma_f64 v[92:93], v[92:93], v[44:45], -v[129:130]
	v_fma_f64 v[94:95], v[94:95], v[44:45], v[131:132]
	;; [unrolled: 2-line block ×3, first 2 shown]
	v_fma_f64 v[102:103], v[102:103], v[56:57], v[137:138]
	v_fma_f64 v[100:101], v[100:101], v[56:57], -v[139:140]
	v_mul_f64 v[129:130], v[122:123], v[62:63]
	v_fma_f64 v[104:105], v[104:105], v[40:41], -v[141:142]
	v_fma_f64 v[106:107], v[106:107], v[40:41], v[143:144]
	v_fma_f64 v[108:109], v[108:109], v[72:73], -v[145:146]
	v_fma_f64 v[110:111], v[110:111], v[72:73], v[147:148]
	;; [unrolled: 2-line block ×4, first 2 shown]
	v_fma_f64 v[122:123], v[122:123], v[60:61], v[157:158]
	ds_read_b128 v[88:91], v197
	v_add_f64 v[171:172], v[124:125], -v[92:93]
	v_add_f64 v[175:176], v[92:93], -v[124:125]
	v_add_f64 v[131:132], v[92:93], v[96:97]
	v_add_f64 v[133:134], v[94:95], v[98:99]
	;; [unrolled: 1-line block ×4, first 2 shown]
	v_fma_f64 v[120:121], v[120:121], v[60:61], -v[129:130]
	v_add_f64 v[145:146], v[126:127], -v[102:103]
	v_add_f64 v[147:148], v[94:95], -v[98:99]
	;; [unrolled: 1-line block ×6, first 2 shown]
	v_add_f64 v[139:140], v[112:113], v[116:117]
	v_add_f64 v[165:166], v[114:115], v[118:119]
	;; [unrolled: 1-line block ×3, first 2 shown]
	v_add_f64 v[179:180], v[126:127], -v[94:95]
	v_add_f64 v[181:182], v[102:103], -v[98:99]
	;; [unrolled: 1-line block ×4, first 2 shown]
	s_waitcnt lgkmcnt(0)
	v_add_f64 v[129:130], v[88:89], v[108:109]
	v_add_f64 v[141:142], v[110:111], -v[122:123]
	v_add_f64 v[143:144], v[114:115], -v[118:119]
	v_add_f64 v[153:154], v[108:109], -v[112:113]
	v_fma_f64 v[131:132], v[131:132], -0.5, v[104:105]
	v_fma_f64 v[133:134], v[133:134], -0.5, v[106:107]
	;; [unrolled: 1-line block ×4, first 2 shown]
	v_add_f64 v[157:158], v[108:109], v[120:121]
	v_add_f64 v[155:156], v[120:121], -v[116:117]
	v_add_f64 v[159:160], v[112:113], -v[108:109]
	;; [unrolled: 1-line block ×3, first 2 shown]
	v_add_f64 v[163:164], v[90:91], v[110:111]
	v_add_f64 v[108:109], v[108:109], -v[120:121]
	v_add_f64 v[167:168], v[112:113], -v[116:117]
	v_add_f64 v[104:105], v[104:105], v[124:125]
	v_add_f64 v[106:107], v[106:107], v[126:127]
	v_fma_f64 v[124:125], v[139:140], -0.5, v[88:89]
	v_fma_f64 v[126:127], v[165:166], -0.5, v[90:91]
	;; [unrolled: 1-line block ×3, first 2 shown]
	v_add_f64 v[139:140], v[171:172], v[173:174]
	v_add_f64 v[165:166], v[179:180], v[181:182]
	;; [unrolled: 1-line block ×3, first 2 shown]
	v_add_f64 v[195:196], v[110:111], -v[114:115]
	v_add_f64 v[202:203], v[122:123], -v[118:119]
	;; [unrolled: 1-line block ×3, first 2 shown]
	v_fma_f64 v[193:194], v[145:146], s[16:17], v[131:132]
	v_fma_f64 v[187:188], v[149:150], s[16:17], v[133:134]
	;; [unrolled: 1-line block ×8, first 2 shown]
	v_fma_f64 v[88:89], v[157:158], -0.5, v[88:89]
	v_add_f64 v[157:158], v[175:176], v[177:178]
	v_add_f64 v[204:205], v[118:119], -v[122:123]
	v_add_f64 v[112:113], v[129:130], v[112:113]
	v_add_f64 v[129:130], v[153:154], v[155:156]
	;; [unrolled: 1-line block ×5, first 2 shown]
	v_fma_f64 v[104:105], v[141:142], s[2:3], v[124:125]
	v_fma_f64 v[106:107], v[141:142], s[16:17], v[124:125]
	;; [unrolled: 1-line block ×10, first 2 shown]
	v_add_f64 v[145:146], v[159:160], v[161:162]
	v_fma_f64 v[124:125], v[143:144], s[16:17], v[88:89]
	v_fma_f64 v[88:89], v[143:144], s[2:3], v[88:89]
	;; [unrolled: 1-line block ×6, first 2 shown]
	v_add_f64 v[110:111], v[110:111], v[204:205]
	v_add_f64 v[112:113], v[112:113], v[116:117]
	v_add_f64 v[114:115], v[114:115], v[118:119]
	v_add_f64 v[92:93], v[92:93], v[96:97]
	v_add_f64 v[94:95], v[94:95], v[98:99]
	v_fma_f64 v[96:97], v[143:144], s[8:9], v[104:105]
	v_fma_f64 v[98:99], v[143:144], s[18:19], v[106:107]
	;; [unrolled: 1-line block ×10, first 2 shown]
	v_add_f64 v[139:140], v[195:196], v[202:203]
	v_fma_f64 v[104:105], v[141:142], s[8:9], v[124:125]
	v_fma_f64 v[88:89], v[141:142], s[18:19], v[88:89]
	;; [unrolled: 1-line block ×6, first 2 shown]
	v_add_f64 v[112:113], v[112:113], v[120:121]
	v_add_f64 v[114:115], v[114:115], v[122:123]
	;; [unrolled: 1-line block ×4, first 2 shown]
	v_fma_f64 v[120:121], v[129:130], s[10:11], v[96:97]
	v_fma_f64 v[122:123], v[129:130], s[10:11], v[98:99]
	v_mul_f64 v[141:142], v[159:160], s[20:21]
	v_mul_f64 v[108:109], v[151:152], s[8:9]
	;; [unrolled: 1-line block ×8, first 2 shown]
	v_fma_f64 v[129:130], v[145:146], s[10:11], v[104:105]
	v_fma_f64 v[145:146], v[145:146], s[10:11], v[88:89]
	;; [unrolled: 1-line block ×6, first 2 shown]
	v_add_f64 v[88:89], v[112:113], v[92:93]
	v_add_f64 v[90:91], v[114:115], v[94:95]
	v_add_f64 v[104:105], v[112:113], -v[92:93]
	v_add_f64 v[106:107], v[114:115], -v[94:95]
	v_fma_f64 v[116:117], v[131:132], s[20:21], v[108:109]
	v_fma_f64 v[124:125], v[137:138], s[10:11], v[124:125]
	v_fma_f64 v[126:127], v[135:136], s[2:3], -v[126:127]
	v_fma_f64 v[131:132], v[133:134], s[8:9], -v[141:142]
	v_fma_f64 v[133:134], v[151:152], s[20:21], v[143:144]
	v_fma_f64 v[135:136], v[153:154], s[10:11], v[147:148]
	v_fma_f64 v[137:138], v[155:156], s[16:17], -v[149:150]
	v_fma_f64 v[141:142], v[159:160], s[18:19], -v[157:158]
	v_add_f64 v[92:93], v[120:121], v[116:117]
	v_add_f64 v[96:97], v[129:130], v[124:125]
	;; [unrolled: 1-line block ×8, first 2 shown]
	v_add_f64 v[112:113], v[120:121], -v[116:117]
	v_add_f64 v[116:117], v[129:130], -v[124:125]
	;; [unrolled: 1-line block ×8, first 2 shown]
	ds_write_b128 v197, v[88:91]
	ds_write_b128 v197, v[104:107] offset:11440
	ds_write_b128 v197, v[92:95] offset:2288
	;; [unrolled: 1-line block ×9, first 2 shown]
	s_waitcnt lgkmcnt(0)
	s_barrier
	buffer_gl0_inv
	s_and_saveexec_b32 s2, vcc_lo
	s_cbranch_execz .LBB0_13
; %bb.12:
	v_add_co_u32 v129, s1, s14, v197
	v_add_co_ci_u32_e64 v130, null, s15, 0, s1
	v_add_co_u32 v131, s1, 0x5800, v129
	v_add_co_ci_u32_e64 v132, s1, 0, v130, s1
	v_add_co_u32 v135, s1, 0x5960, v129
	v_add_co_ci_u32_e64 v136, s1, 0, v130, s1
	global_load_dwordx4 v[131:134], v[131:132], off offset:352
	v_add_co_u32 v139, s1, 0x6000, v129
	global_load_dwordx4 v[135:138], v[135:136], off offset:1760
	v_add_co_ci_u32_e64 v140, s1, 0, v130, s1
	v_add_co_u32 v143, s1, 0x6800, v129
	v_add_co_ci_u32_e64 v144, s1, 0, v130, s1
	global_load_dwordx4 v[139:142], v[139:140], off offset:1824
	v_add_co_u32 v147, s1, 0x7000, v129
	global_load_dwordx4 v[143:146], v[143:144], off offset:1536
	;; [unrolled: 6-line block ×4, first 2 shown]
	v_add_co_ci_u32_e64 v168, s1, 0, v130, s1
	s_clause 0x1
	global_load_dwordx4 v[163:166], v[167:168], off offset:96
	global_load_dwordx4 v[167:170], v[167:168], off offset:1856
	ds_read_b128 v[171:174], v197
	ds_read_b128 v[175:178], v197 offset:1760
	s_waitcnt vmcnt(9) lgkmcnt(1)
	v_mul_f64 v[179:180], v[173:174], v[133:134]
	v_mul_f64 v[133:134], v[171:172], v[133:134]
	s_waitcnt vmcnt(8) lgkmcnt(0)
	v_mul_f64 v[181:182], v[177:178], v[137:138]
	v_mul_f64 v[137:138], v[175:176], v[137:138]
	v_fma_f64 v[171:172], v[171:172], v[131:132], -v[179:180]
	v_fma_f64 v[173:174], v[173:174], v[131:132], v[133:134]
	ds_read_b128 v[131:134], v197 offset:3520
	v_fma_f64 v[175:176], v[175:176], v[135:136], -v[181:182]
	v_fma_f64 v[177:178], v[177:178], v[135:136], v[137:138]
	ds_read_b128 v[135:138], v197 offset:5280
	s_waitcnt vmcnt(7) lgkmcnt(1)
	v_mul_f64 v[179:180], v[133:134], v[141:142]
	v_mul_f64 v[141:142], v[131:132], v[141:142]
	s_waitcnt vmcnt(6) lgkmcnt(0)
	v_mul_f64 v[181:182], v[137:138], v[145:146]
	v_mul_f64 v[145:146], v[135:136], v[145:146]
	v_fma_f64 v[131:132], v[131:132], v[139:140], -v[179:180]
	v_fma_f64 v[133:134], v[133:134], v[139:140], v[141:142]
	ds_read_b128 v[139:142], v197 offset:7040
	v_fma_f64 v[135:136], v[135:136], v[143:144], -v[181:182]
	v_fma_f64 v[137:138], v[137:138], v[143:144], v[145:146]
	;; [unrolled: 12-line block ×4, first 2 shown]
	ds_read_b128 v[159:162], v197 offset:15840
	v_add_co_u32 v181, s1, 0x9800, v129
	v_add_co_ci_u32_e64 v182, s1, 0, v130, s1
	s_waitcnt vmcnt(1) lgkmcnt(1)
	v_mul_f64 v[179:180], v[157:158], v[165:166]
	v_mul_f64 v[165:166], v[155:156], v[165:166]
	v_fma_f64 v[155:156], v[155:156], v[163:164], -v[179:180]
	v_fma_f64 v[157:158], v[157:158], v[163:164], v[165:166]
	global_load_dwordx4 v[163:166], v[181:182], off offset:1568
	s_waitcnt vmcnt(1) lgkmcnt(0)
	v_mul_f64 v[179:180], v[161:162], v[169:170]
	v_mul_f64 v[169:170], v[159:160], v[169:170]
	v_add_co_u32 v181, s1, 0xa000, v129
	v_add_co_ci_u32_e64 v182, s1, 0, v130, s1
	v_add_co_u32 v129, s1, 0xa800, v129
	v_add_co_ci_u32_e64 v130, s1, 0, v130, s1
	v_fma_f64 v[159:160], v[159:160], v[167:168], -v[179:180]
	v_fma_f64 v[161:162], v[161:162], v[167:168], v[169:170]
	global_load_dwordx4 v[167:170], v[181:182], off offset:1280
	ds_read_b128 v[179:182], v197 offset:17600
	ds_read_b128 v[183:186], v197 offset:19360
	s_waitcnt vmcnt(1) lgkmcnt(1)
	v_mul_f64 v[187:188], v[181:182], v[165:166]
	v_mul_f64 v[165:166], v[179:180], v[165:166]
	v_fma_f64 v[179:180], v[179:180], v[163:164], -v[187:188]
	v_fma_f64 v[181:182], v[181:182], v[163:164], v[165:166]
	s_waitcnt vmcnt(0) lgkmcnt(0)
	v_mul_f64 v[163:164], v[185:186], v[169:170]
	v_mul_f64 v[165:166], v[183:184], v[169:170]
	v_fma_f64 v[163:164], v[183:184], v[167:168], -v[163:164]
	v_fma_f64 v[165:166], v[185:186], v[167:168], v[165:166]
	global_load_dwordx4 v[167:170], v[129:130], off offset:992
	ds_read_b128 v[183:186], v197 offset:21120
	s_waitcnt vmcnt(0) lgkmcnt(0)
	v_mul_f64 v[129:130], v[185:186], v[169:170]
	v_mul_f64 v[169:170], v[183:184], v[169:170]
	v_fma_f64 v[183:184], v[183:184], v[167:168], -v[129:130]
	v_fma_f64 v[185:186], v[185:186], v[167:168], v[169:170]
	ds_write_b128 v197, v[171:174]
	ds_write_b128 v197, v[175:178] offset:1760
	ds_write_b128 v197, v[131:134] offset:3520
	;; [unrolled: 1-line block ×12, first 2 shown]
.LBB0_13:
	s_or_b32 exec_lo, exec_lo, s2
	s_waitcnt lgkmcnt(0)
	s_barrier
	buffer_gl0_inv
	s_and_saveexec_b32 s1, vcc_lo
	s_cbranch_execz .LBB0_15
; %bb.14:
	ds_read_b128 v[88:91], v197
	ds_read_b128 v[92:95], v197 offset:1760
	ds_read_b128 v[96:99], v197 offset:3520
	;; [unrolled: 1-line block ×12, first 2 shown]
.LBB0_15:
	s_or_b32 exec_lo, exec_lo, s1
	s_waitcnt lgkmcnt(11)
	v_add_f64 v[129:130], v[88:89], v[92:93]
	v_add_f64 v[131:132], v[90:91], v[94:95]
	s_waitcnt lgkmcnt(5)
	v_add_f64 v[133:134], v[112:113], v[116:117]
	v_add_f64 v[202:203], v[112:113], -v[116:117]
	v_add_f64 v[135:136], v[114:115], v[118:119]
	v_add_f64 v[204:205], v[114:115], -v[118:119]
	s_waitcnt lgkmcnt(4)
	v_add_f64 v[206:207], v[104:105], -v[120:121]
	s_waitcnt lgkmcnt(3)
	v_add_f64 v[137:138], v[108:109], v[124:125]
	s_waitcnt lgkmcnt(0)
	v_add_f64 v[214:215], v[94:95], -v[82:83]
	s_mov_b32 s34, 0x4267c47c
	s_mov_b32 s35, 0xbfddbe06
	v_add_f64 v[139:140], v[110:111], v[126:127]
	v_add_f64 v[208:209], v[102:103], -v[86:87]
	v_add_f64 v[165:166], v[96:97], v[76:77]
	v_add_f64 v[210:211], v[96:97], -v[76:77]
	v_add_f64 v[212:213], v[98:99], -v[78:79]
	v_add_f64 v[177:178], v[92:93], v[80:81]
	s_mov_b32 s2, 0xe00740e9
	s_mov_b32 s30, 0x42a4c3d2
	;; [unrolled: 1-line block ×4, first 2 shown]
	v_add_f64 v[167:168], v[98:99], v[78:79]
	v_add_f64 v[129:130], v[129:130], v[96:97]
	;; [unrolled: 1-line block ×3, first 2 shown]
	v_add_f64 v[216:217], v[92:93], -v[80:81]
	s_mov_b32 s20, 0x1ea71119
	s_mov_b32 s21, 0x3fe22d96
	v_add_f64 v[185:186], v[94:95], v[82:83]
	s_mov_b32 s24, 0x66966769
	s_mov_b32 s25, 0xbfefc445
	v_mul_f64 v[153:154], v[214:215], s[34:35]
	s_mov_b32 s8, 0xebaa3ed8
	s_mov_b32 s9, 0x3fbedb7d
	s_mov_b32 s22, 0x2ef20147
	v_mul_f64 v[147:148], v[208:209], s[24:25]
	s_mov_b32 s23, 0xbfedeba7
	v_mul_f64 v[157:158], v[210:211], s[30:31]
	v_mul_f64 v[151:152], v[212:213], s[30:31]
	s_mov_b32 s18, 0xb2365da1
	s_mov_b32 s19, 0xbfd6b1d8
	;; [unrolled: 1-line block ×6, first 2 shown]
	v_add_f64 v[129:130], v[129:130], v[100:101]
	v_add_f64 v[131:132], v[131:132], v[102:103]
	v_mul_f64 v[163:164], v[216:217], s[34:35]
	v_mul_f64 v[145:146], v[206:207], s[26:27]
	s_mov_b32 s28, 0x4bc48dbf
	s_mov_b32 s29, 0xbfcea1e5
	;; [unrolled: 1-line block ×3, first 2 shown]
	v_mul_f64 v[159:160], v[204:205], s[28:29]
	s_mov_b32 s11, 0xbfef11f4
	v_mul_f64 v[161:162], v[202:203], s[28:29]
	v_mul_f64 v[193:194], v[214:215], s[30:31]
	;; [unrolled: 1-line block ×6, first 2 shown]
	s_mov_b32 s43, 0x3fe5384d
	s_mov_b32 s42, s26
	s_mov_b32 s37, 0x3fefc445
	s_mov_b32 s36, s24
	s_mov_b32 s39, 0x3fddbe06
	v_mul_f64 v[175:176], v[206:207], s[36:37]
	s_mov_b32 s38, s34
	v_add_f64 v[129:130], v[129:130], v[108:109]
	v_add_f64 v[131:132], v[131:132], v[110:111]
	v_mul_f64 v[171:172], v[204:205], s[38:39]
	v_mul_f64 v[183:184], v[202:203], s[38:39]
	;; [unrolled: 1-line block ×4, first 2 shown]
	s_mov_b32 s47, 0x3fcea1e5
	s_mov_b32 s46, s28
	;; [unrolled: 1-line block ×6, first 2 shown]
	v_fma_f64 v[92:93], v[167:168], s[18:19], -v[191:192]
	s_barrier
	buffer_gl0_inv
	v_add_f64 v[129:130], v[129:130], v[104:105]
	v_add_f64 v[131:132], v[131:132], v[106:107]
	v_fma_f64 v[94:95], v[165:166], s[10:11], v[98:99]
	v_fma_f64 v[98:99], v[165:166], s[10:11], -v[98:99]
	v_add_f64 v[129:130], v[129:130], v[112:113]
	v_add_f64 v[131:132], v[131:132], v[114:115]
	;; [unrolled: 1-line block ×6, first 2 shown]
	v_add_f64 v[116:117], v[106:107], -v[122:123]
	v_add_f64 v[118:119], v[110:111], -v[126:127]
	v_add_f64 v[104:105], v[112:113], v[120:121]
	v_add_f64 v[106:107], v[114:115], v[122:123]
	v_add_f64 v[120:121], v[108:109], -v[124:125]
	v_add_f64 v[122:123], v[100:101], -v[84:85]
	v_mul_f64 v[141:142], v[116:117], s[26:27]
	v_mul_f64 v[143:144], v[118:119], s[22:23]
	;; [unrolled: 1-line block ×4, first 2 shown]
	v_add_f64 v[104:105], v[104:105], v[124:125]
	v_add_f64 v[106:107], v[106:107], v[126:127]
	v_add_f64 v[124:125], v[100:101], v[84:85]
	v_add_f64 v[126:127], v[102:103], v[86:87]
	v_mul_f64 v[155:156], v[122:123], s[24:25]
	v_mul_f64 v[149:150], v[120:121], s[22:23]
	;; [unrolled: 1-line block ×6, first 2 shown]
	v_add_f64 v[84:85], v[104:105], v[84:85]
	v_add_f64 v[86:87], v[106:107], v[86:87]
	v_fma_f64 v[104:105], v[210:211], s[46:47], v[102:103]
	v_add_f64 v[76:77], v[84:85], v[76:77]
	v_add_f64 v[78:79], v[86:87], v[78:79]
	v_fma_f64 v[84:85], v[167:168], s[20:21], -v[157:158]
	v_fma_f64 v[86:87], v[165:166], s[18:19], v[187:188]
	v_add_f64 v[76:77], v[76:77], v[80:81]
	v_fma_f64 v[80:81], v[177:178], s[2:3], v[153:154]
	v_add_f64 v[78:79], v[78:79], v[82:83]
	;; [unrolled: 2-line block ×3, first 2 shown]
	v_add_f64 v[80:81], v[82:83], v[80:81]
	v_fma_f64 v[82:83], v[185:186], s[2:3], -v[163:164]
	v_add_f64 v[82:83], v[90:91], v[82:83]
	v_add_f64 v[82:83], v[84:85], v[82:83]
	v_fma_f64 v[84:85], v[124:125], s[8:9], v[147:148]
	v_add_f64 v[80:81], v[84:85], v[80:81]
	v_fma_f64 v[84:85], v[126:127], s[8:9], -v[155:156]
	v_add_f64 v[82:83], v[84:85], v[82:83]
	v_fma_f64 v[84:85], v[137:138], s[18:19], v[143:144]
	v_add_f64 v[80:81], v[84:85], v[80:81]
	v_fma_f64 v[84:85], v[139:140], s[18:19], -v[149:150]
	;; [unrolled: 4-line block ×4, first 2 shown]
	v_add_f64 v[82:83], v[84:85], v[82:83]
	v_fma_f64 v[84:85], v[177:178], s[20:21], v[193:194]
	v_add_f64 v[84:85], v[88:89], v[84:85]
	v_add_f64 v[84:85], v[86:87], v[84:85]
	v_fma_f64 v[86:87], v[185:186], s[20:21], -v[195:196]
	v_add_f64 v[86:87], v[90:91], v[86:87]
	v_add_f64 v[86:87], v[92:93], v[86:87]
	v_fma_f64 v[92:93], v[124:125], s[10:11], v[179:180]
	v_add_f64 v[84:85], v[92:93], v[84:85]
	v_fma_f64 v[92:93], v[126:127], s[10:11], -v[189:190]
	v_add_f64 v[86:87], v[92:93], v[86:87]
	v_fma_f64 v[92:93], v[137:138], s[16:17], v[173:174]
	v_add_f64 v[84:85], v[92:93], v[84:85]
	v_fma_f64 v[92:93], v[139:140], s[16:17], -v[181:182]
	;; [unrolled: 4-line block ×4, first 2 shown]
	v_add_f64 v[86:87], v[92:93], v[86:87]
	v_fma_f64 v[92:93], v[177:178], s[8:9], v[96:97]
	v_fma_f64 v[96:97], v[177:178], s[8:9], -v[96:97]
	v_add_f64 v[92:93], v[88:89], v[92:93]
	v_add_f64 v[96:97], v[88:89], v[96:97]
	;; [unrolled: 1-line block ×3, first 2 shown]
	v_fma_f64 v[94:95], v[216:217], s[36:37], v[100:101]
	v_add_f64 v[96:97], v[98:99], v[96:97]
	v_fma_f64 v[98:99], v[216:217], s[24:25], v[100:101]
	v_fma_f64 v[100:101], v[210:211], s[28:29], v[102:103]
	v_add_f64 v[94:95], v[90:91], v[94:95]
	v_add_f64 v[98:99], v[90:91], v[98:99]
	;; [unrolled: 1-line block ×3, first 2 shown]
	v_mul_f64 v[104:105], v[208:209], s[44:45]
	v_add_f64 v[98:99], v[100:101], v[98:99]
	v_fma_f64 v[106:107], v[124:125], s[18:19], v[104:105]
	v_fma_f64 v[100:101], v[124:125], s[18:19], -v[104:105]
	v_mul_f64 v[104:105], v[214:215], s[22:23]
	v_add_f64 v[92:93], v[106:107], v[92:93]
	v_mul_f64 v[106:107], v[126:127], s[18:19]
	v_add_f64 v[96:97], v[100:101], v[96:97]
	v_fma_f64 v[108:109], v[122:123], s[22:23], v[106:107]
	v_fma_f64 v[100:101], v[122:123], s[44:45], v[106:107]
	v_mul_f64 v[106:107], v[212:213], s[42:43]
	v_add_f64 v[94:95], v[108:109], v[94:95]
	v_mul_f64 v[108:109], v[118:119], s[38:39]
	v_add_f64 v[98:99], v[100:101], v[98:99]
	v_fma_f64 v[110:111], v[137:138], s[2:3], v[108:109]
	v_fma_f64 v[100:101], v[137:138], s[2:3], -v[108:109]
	v_mul_f64 v[108:109], v[185:186], s[18:19]
	v_add_f64 v[92:93], v[110:111], v[92:93]
	v_mul_f64 v[110:111], v[139:140], s[2:3]
	v_add_f64 v[96:97], v[100:101], v[96:97]
	v_fma_f64 v[112:113], v[120:121], s[34:35], v[110:111]
	v_fma_f64 v[100:101], v[120:121], s[38:39], v[110:111]
	v_mul_f64 v[110:111], v[167:168], s[16:17]
	v_add_f64 v[94:95], v[112:113], v[94:95]
	v_mul_f64 v[112:113], v[116:117], s[30:31]
	v_add_f64 v[98:99], v[100:101], v[98:99]
	v_fma_f64 v[114:115], v[129:130], s[20:21], v[112:113]
	v_fma_f64 v[100:101], v[129:130], s[20:21], -v[112:113]
	v_fma_f64 v[112:113], v[210:211], s[26:27], v[110:111]
	v_add_f64 v[92:93], v[114:115], v[92:93]
	v_mul_f64 v[114:115], v[131:132], s[20:21]
	v_add_f64 v[96:97], v[100:101], v[96:97]
	v_fma_f64 v[218:219], v[206:207], s[40:41], v[114:115]
	v_fma_f64 v[100:101], v[206:207], s[30:31], v[114:115]
	v_add_f64 v[94:95], v[218:219], v[94:95]
	v_mul_f64 v[218:219], v[204:205], s[26:27]
	v_add_f64 v[98:99], v[100:101], v[98:99]
	v_fma_f64 v[220:221], v[133:134], s[16:17], v[218:219]
	v_fma_f64 v[100:101], v[133:134], s[16:17], -v[218:219]
	v_add_f64 v[92:93], v[220:221], v[92:93]
	v_mul_f64 v[220:221], v[135:136], s[16:17]
	v_add_f64 v[100:101], v[100:101], v[96:97]
	v_fma_f64 v[96:97], v[177:178], s[18:19], v[104:105]
	v_fma_f64 v[104:105], v[177:178], s[18:19], -v[104:105]
	v_fma_f64 v[102:103], v[202:203], s[26:27], v[220:221]
	v_fma_f64 v[222:223], v[202:203], s[42:43], v[220:221]
	v_add_f64 v[96:97], v[88:89], v[96:97]
	v_add_f64 v[104:105], v[88:89], v[104:105]
	;; [unrolled: 1-line block ×3, first 2 shown]
	v_fma_f64 v[98:99], v[165:166], s[16:17], v[106:107]
	v_fma_f64 v[106:107], v[165:166], s[16:17], -v[106:107]
	v_add_f64 v[94:95], v[222:223], v[94:95]
	v_add_f64 v[96:97], v[98:99], v[96:97]
	v_fma_f64 v[98:99], v[216:217], s[44:45], v[108:109]
	v_add_f64 v[104:105], v[106:107], v[104:105]
	v_fma_f64 v[106:107], v[216:217], s[22:23], v[108:109]
	v_fma_f64 v[108:109], v[210:211], s[42:43], v[110:111]
	v_add_f64 v[98:99], v[90:91], v[98:99]
	v_add_f64 v[106:107], v[90:91], v[106:107]
	;; [unrolled: 1-line block ×3, first 2 shown]
	v_mul_f64 v[112:113], v[208:209], s[38:39]
	v_add_f64 v[106:107], v[108:109], v[106:107]
	v_fma_f64 v[114:115], v[124:125], s[2:3], v[112:113]
	v_fma_f64 v[108:109], v[124:125], s[2:3], -v[112:113]
	v_mul_f64 v[112:113], v[214:215], s[26:27]
	v_mul_f64 v[214:215], v[214:215], s[28:29]
	v_add_f64 v[96:97], v[114:115], v[96:97]
	v_mul_f64 v[114:115], v[126:127], s[2:3]
	v_add_f64 v[104:105], v[108:109], v[104:105]
	v_fma_f64 v[218:219], v[122:123], s[34:35], v[114:115]
	v_fma_f64 v[108:109], v[122:123], s[38:39], v[114:115]
	v_mul_f64 v[114:115], v[212:213], s[36:37]
	v_mul_f64 v[212:213], v[212:213], s[38:39]
	v_add_f64 v[98:99], v[218:219], v[98:99]
	v_mul_f64 v[218:219], v[118:119], s[24:25]
	v_add_f64 v[106:107], v[108:109], v[106:107]
	v_fma_f64 v[220:221], v[137:138], s[8:9], v[218:219]
	v_fma_f64 v[108:109], v[137:138], s[8:9], -v[218:219]
	v_mul_f64 v[218:219], v[185:186], s[16:17]
	v_add_f64 v[96:97], v[220:221], v[96:97]
	v_mul_f64 v[220:221], v[139:140], s[8:9]
	v_add_f64 v[104:105], v[108:109], v[104:105]
	v_fma_f64 v[222:223], v[120:121], s[36:37], v[220:221]
	v_fma_f64 v[108:109], v[120:121], s[24:25], v[220:221]
	v_mul_f64 v[220:221], v[167:168], s[8:9]
	v_add_f64 v[98:99], v[222:223], v[98:99]
	v_mul_f64 v[222:223], v[116:117], s[46:47]
	v_add_f64 v[106:107], v[108:109], v[106:107]
	v_fma_f64 v[224:225], v[129:130], s[10:11], v[222:223]
	v_fma_f64 v[108:109], v[129:130], s[10:11], -v[222:223]
	v_fma_f64 v[222:223], v[210:211], s[24:25], v[220:221]
	v_add_f64 v[96:97], v[224:225], v[96:97]
	v_mul_f64 v[224:225], v[131:132], s[10:11]
	v_add_f64 v[104:105], v[108:109], v[104:105]
	v_fma_f64 v[226:227], v[206:207], s[28:29], v[224:225]
	v_fma_f64 v[108:109], v[206:207], s[46:47], v[224:225]
	v_add_f64 v[98:99], v[226:227], v[98:99]
	v_mul_f64 v[226:227], v[204:205], s[40:41]
	v_add_f64 v[106:107], v[108:109], v[106:107]
	v_fma_f64 v[228:229], v[133:134], s[20:21], v[226:227]
	v_fma_f64 v[108:109], v[133:134], s[20:21], -v[226:227]
	v_add_f64 v[96:97], v[228:229], v[96:97]
	v_mul_f64 v[228:229], v[135:136], s[20:21]
	v_add_f64 v[104:105], v[108:109], v[104:105]
	v_fma_f64 v[108:109], v[177:178], s[16:17], v[112:113]
	v_fma_f64 v[112:113], v[177:178], s[16:17], -v[112:113]
	v_fma_f64 v[110:111], v[202:203], s[40:41], v[228:229]
	v_fma_f64 v[230:231], v[202:203], s[30:31], v[228:229]
	v_add_f64 v[108:109], v[88:89], v[108:109]
	v_add_f64 v[112:113], v[88:89], v[112:113]
	;; [unrolled: 1-line block ×3, first 2 shown]
	v_fma_f64 v[110:111], v[165:166], s[8:9], v[114:115]
	v_fma_f64 v[114:115], v[165:166], s[8:9], -v[114:115]
	v_add_f64 v[98:99], v[230:231], v[98:99]
	v_add_f64 v[108:109], v[110:111], v[108:109]
	v_fma_f64 v[110:111], v[216:217], s[42:43], v[218:219]
	v_add_f64 v[112:113], v[114:115], v[112:113]
	v_fma_f64 v[114:115], v[216:217], s[26:27], v[218:219]
	v_fma_f64 v[218:219], v[210:211], s[36:37], v[220:221]
	v_add_f64 v[110:111], v[90:91], v[110:111]
	v_add_f64 v[114:115], v[90:91], v[114:115]
	;; [unrolled: 1-line block ×3, first 2 shown]
	v_mul_f64 v[222:223], v[208:209], s[30:31]
	v_add_f64 v[114:115], v[218:219], v[114:115]
	v_mul_f64 v[208:209], v[208:209], s[26:27]
	v_fma_f64 v[224:225], v[124:125], s[20:21], v[222:223]
	v_fma_f64 v[218:219], v[124:125], s[20:21], -v[222:223]
	v_add_f64 v[108:109], v[224:225], v[108:109]
	v_mul_f64 v[224:225], v[126:127], s[20:21]
	v_add_f64 v[112:113], v[218:219], v[112:113]
	v_fma_f64 v[226:227], v[122:123], s[40:41], v[224:225]
	v_fma_f64 v[218:219], v[122:123], s[30:31], v[224:225]
	v_mul_f64 v[224:225], v[167:168], s[2:3]
	v_add_f64 v[110:111], v[226:227], v[110:111]
	v_mul_f64 v[226:227], v[118:119], s[46:47]
	v_add_f64 v[114:115], v[218:219], v[114:115]
	v_fma_f64 v[228:229], v[137:138], s[10:11], v[226:227]
	v_fma_f64 v[218:219], v[137:138], s[10:11], -v[226:227]
	v_fma_f64 v[226:227], v[210:211], s[34:35], v[224:225]
	v_fma_f64 v[210:211], v[210:211], s[38:39], v[224:225]
	v_add_f64 v[108:109], v[228:229], v[108:109]
	v_mul_f64 v[228:229], v[139:140], s[10:11]
	v_add_f64 v[112:113], v[218:219], v[112:113]
	v_fma_f64 v[230:231], v[120:121], s[28:29], v[228:229]
	v_fma_f64 v[218:219], v[120:121], s[46:47], v[228:229]
	v_add_f64 v[110:111], v[230:231], v[110:111]
	v_mul_f64 v[230:231], v[116:117], s[38:39]
	v_add_f64 v[114:115], v[218:219], v[114:115]
	v_fma_f64 v[232:233], v[129:130], s[2:3], v[230:231]
	v_fma_f64 v[218:219], v[129:130], s[2:3], -v[230:231]
	v_add_f64 v[108:109], v[232:233], v[108:109]
	v_mul_f64 v[232:233], v[131:132], s[2:3]
	v_add_f64 v[112:113], v[218:219], v[112:113]
	v_fma_f64 v[234:235], v[206:207], s[34:35], v[232:233]
	v_fma_f64 v[218:219], v[206:207], s[38:39], v[232:233]
	v_mul_f64 v[232:233], v[131:132], s[18:19]
	v_add_f64 v[110:111], v[234:235], v[110:111]
	v_mul_f64 v[234:235], v[204:205], s[22:23]
	v_add_f64 v[114:115], v[218:219], v[114:115]
	v_mul_f64 v[204:205], v[204:205], s[36:37]
	v_fma_f64 v[236:237], v[133:134], s[18:19], v[234:235]
	v_fma_f64 v[218:219], v[133:134], s[18:19], -v[234:235]
	v_add_f64 v[108:109], v[236:237], v[108:109]
	v_mul_f64 v[236:237], v[135:136], s[18:19]
	v_add_f64 v[112:113], v[218:219], v[112:113]
	v_fma_f64 v[218:219], v[177:178], s[10:11], v[214:215]
	v_fma_f64 v[214:215], v[177:178], s[10:11], -v[214:215]
	v_fma_f64 v[220:221], v[202:203], s[22:23], v[236:237]
	v_fma_f64 v[238:239], v[202:203], s[44:45], v[236:237]
	v_add_f64 v[218:219], v[88:89], v[218:219]
	v_add_f64 v[214:215], v[88:89], v[214:215]
	;; [unrolled: 1-line block ×3, first 2 shown]
	v_fma_f64 v[220:221], v[165:166], s[2:3], v[212:213]
	v_fma_f64 v[212:213], v[165:166], s[2:3], -v[212:213]
	v_add_f64 v[110:111], v[238:239], v[110:111]
	v_add_f64 v[218:219], v[220:221], v[218:219]
	v_mul_f64 v[220:221], v[185:186], s[10:11]
	v_add_f64 v[212:213], v[212:213], v[214:215]
	v_fma_f64 v[222:223], v[216:217], s[46:47], v[220:221]
	v_fma_f64 v[216:217], v[216:217], s[28:29], v[220:221]
	v_add_f64 v[222:223], v[90:91], v[222:223]
	v_add_f64 v[214:215], v[90:91], v[216:217]
	;; [unrolled: 1-line block ×3, first 2 shown]
	v_fma_f64 v[226:227], v[124:125], s[16:17], v[208:209]
	v_add_f64 v[210:211], v[210:211], v[214:215]
	v_fma_f64 v[208:209], v[124:125], s[16:17], -v[208:209]
	v_add_f64 v[218:219], v[226:227], v[218:219]
	v_mul_f64 v[226:227], v[126:127], s[16:17]
	v_add_f64 v[208:209], v[208:209], v[212:213]
	v_fma_f64 v[228:229], v[122:123], s[42:43], v[226:227]
	v_fma_f64 v[122:123], v[122:123], s[26:27], v[226:227]
	v_add_f64 v[222:223], v[228:229], v[222:223]
	v_mul_f64 v[228:229], v[118:119], s[40:41]
	v_add_f64 v[122:123], v[122:123], v[210:211]
	v_fma_f64 v[118:119], v[137:138], s[20:21], v[228:229]
	v_fma_f64 v[210:211], v[137:138], s[20:21], -v[228:229]
	v_add_f64 v[118:119], v[118:119], v[218:219]
	v_mul_f64 v[218:219], v[139:140], s[20:21]
	v_add_f64 v[208:209], v[210:211], v[208:209]
	v_fma_f64 v[230:231], v[120:121], s[30:31], v[218:219]
	v_fma_f64 v[120:121], v[120:121], s[40:41], v[218:219]
	v_add_f64 v[222:223], v[230:231], v[222:223]
	v_mul_f64 v[230:231], v[116:117], s[22:23]
	v_add_f64 v[120:121], v[120:121], v[122:123]
	v_fma_f64 v[122:123], v[206:207], s[22:23], v[232:233]
	v_fma_f64 v[116:117], v[129:130], s[18:19], v[230:231]
	v_add_f64 v[122:123], v[122:123], v[120:121]
	v_fma_f64 v[120:121], v[133:134], s[8:9], -v[204:205]
	v_add_f64 v[116:117], v[116:117], v[118:119]
	v_fma_f64 v[118:119], v[206:207], s[44:45], v[232:233]
	v_fma_f64 v[206:207], v[129:130], s[18:19], -v[230:231]
	v_add_f64 v[118:119], v[118:119], v[222:223]
	v_fma_f64 v[222:223], v[133:134], s[8:9], v[204:205]
	v_add_f64 v[206:207], v[206:207], v[208:209]
	v_add_f64 v[116:117], v[222:223], v[116:117]
	v_mul_f64 v[222:223], v[135:136], s[8:9]
	v_add_f64 v[120:121], v[120:121], v[206:207]
	v_fma_f64 v[234:235], v[202:203], s[24:25], v[222:223]
	v_fma_f64 v[202:203], v[202:203], s[36:37], v[222:223]
	v_add_f64 v[118:119], v[234:235], v[118:119]
	v_add_f64 v[122:123], v[202:203], v[122:123]
	s_and_saveexec_b32 s1, vcc_lo
	s_cbranch_execz .LBB0_17
; %bb.16:
	v_mul_f64 v[202:203], v[185:186], s[20:21]
	v_mul_f64 v[204:205], v[177:178], s[20:21]
	;; [unrolled: 1-line block ×8, first 2 shown]
	v_add_f64 v[195:196], v[195:196], v[202:203]
	v_add_f64 v[193:194], v[204:205], -v[193:194]
	v_add_f64 v[163:164], v[163:164], v[185:186]
	v_add_f64 v[153:154], v[177:178], -v[153:154]
	v_mul_f64 v[177:178], v[124:125], s[8:9]
	v_mul_f64 v[185:186], v[126:127], s[8:9]
	;; [unrolled: 1-line block ×4, first 2 shown]
	v_add_f64 v[191:192], v[191:192], v[206:207]
	v_add_f64 v[187:188], v[208:209], -v[187:188]
	v_add_f64 v[157:158], v[157:158], v[167:168]
	v_add_f64 v[151:152], v[165:166], -v[151:152]
	v_add_f64 v[165:166], v[90:91], v[195:196]
	v_add_f64 v[167:168], v[88:89], v[193:194]
	;; [unrolled: 1-line block ×4, first 2 shown]
	v_mul_f64 v[153:154], v[137:138], s[18:19]
	v_mul_f64 v[163:164], v[139:140], s[18:19]
	;; [unrolled: 1-line block ×4, first 2 shown]
	v_add_f64 v[126:127], v[189:190], v[126:127]
	v_add_f64 v[124:125], v[124:125], -v[179:180]
	v_add_f64 v[155:156], v[155:156], v[185:186]
	v_add_f64 v[147:148], v[177:178], -v[147:148]
	v_add_f64 v[165:166], v[191:192], v[165:166]
	v_add_f64 v[167:168], v[187:188], v[167:168]
	;; [unrolled: 1-line block ×4, first 2 shown]
	v_mul_f64 v[151:152], v[129:130], s[16:17]
	v_mul_f64 v[157:158], v[131:132], s[16:17]
	;; [unrolled: 1-line block ×4, first 2 shown]
	v_add_f64 v[139:140], v[181:182], v[139:140]
	v_add_f64 v[137:138], v[137:138], -v[173:174]
	v_add_f64 v[149:150], v[149:150], v[163:164]
	v_add_f64 v[143:144], v[153:154], -v[143:144]
	v_mul_f64 v[153:154], v[135:136], s[10:11]
	v_mul_f64 v[135:136], v[135:136], s[2:3]
	v_add_f64 v[126:127], v[126:127], v[165:166]
	v_add_f64 v[124:125], v[124:125], v[167:168]
	;; [unrolled: 1-line block ×4, first 2 shown]
	v_mul_f64 v[147:148], v[133:134], s[10:11]
	v_mul_f64 v[133:134], v[133:134], s[2:3]
	v_add_f64 v[129:130], v[129:130], -v[169:170]
	v_add_f64 v[131:132], v[175:176], v[131:132]
	v_add_f64 v[145:146], v[145:146], v[157:158]
	v_add_f64 v[141:142], v[151:152], -v[141:142]
	v_add_f64 v[135:136], v[183:184], v[135:136]
	v_add_f64 v[126:127], v[139:140], v[126:127]
	;; [unrolled: 1-line block ×6, first 2 shown]
	v_add_f64 v[133:134], v[133:134], -v[171:172]
	v_add_f64 v[139:140], v[147:148], -v[159:160]
	v_add_f64 v[126:127], v[131:132], v[126:127]
	v_add_f64 v[124:125], v[129:130], v[124:125]
	;; [unrolled: 1-line block ×8, first 2 shown]
	v_mov_b32_e32 v129, 4
	v_lshlrev_b32_sdwa v129, v129, v201 dst_sel:DWORD dst_unused:UNUSED_PAD src0_sel:DWORD src1_sel:WORD_0
	ds_write_b128 v129, v[76:79]
	ds_write_b128 v129, v[80:83] offset:16
	ds_write_b128 v129, v[84:87] offset:32
	;; [unrolled: 1-line block ×12, first 2 shown]
.LBB0_17:
	s_or_b32 exec_lo, exec_lo, s1
	s_waitcnt lgkmcnt(0)
	s_barrier
	buffer_gl0_inv
	s_and_saveexec_b32 s1, s0
	s_cbranch_execz .LBB0_19
; %bb.18:
	ds_read_b128 v[76:79], v197
	ds_read_b128 v[80:83], v197 offset:2080
	ds_read_b128 v[84:87], v197 offset:4160
	;; [unrolled: 1-line block ×10, first 2 shown]
.LBB0_19:
	s_or_b32 exec_lo, exec_lo, s1
	s_waitcnt lgkmcnt(0)
	s_barrier
	buffer_gl0_inv
	s_and_saveexec_b32 s33, s0
	s_cbranch_execz .LBB0_21
; %bb.20:
	v_mul_f64 v[88:89], v[2:3], v[82:83]
	v_mul_f64 v[90:91], v[22:23], v[102:103]
	;; [unrolled: 1-line block ×15, first 2 shown]
	s_mov_b32 s24, 0xfd768dbf
	s_mov_b32 s25, 0xbfd207e7
	v_mul_f64 v[129:130], v[26:27], v[98:99]
	v_mul_f64 v[133:134], v[26:27], v[96:97]
	s_mov_b32 s16, 0xf8bb580b
	s_mov_b32 s8, 0x9bcd5057
	s_mov_b32 s20, 0xbb3a28a1
	v_fma_f64 v[80:81], v[0:1], v[80:81], v[88:89]
	v_fma_f64 v[2:3], v[20:21], v[100:101], v[90:91]
	v_mul_f64 v[88:89], v[14:15], v[94:95]
	v_mul_f64 v[90:91], v[18:19], v[114:115]
	;; [unrolled: 1-line block ×3, first 2 shown]
	v_fma_f64 v[22:23], v[32:33], v[116:117], v[126:127]
	v_fma_f64 v[84:85], v[4:5], v[84:85], v[135:136]
	v_fma_f64 v[6:7], v[8:9], v[104:105], v[137:138]
	v_fma_f64 v[82:83], v[0:1], v[82:83], -v[139:140]
	v_fma_f64 v[0:1], v[20:21], v[102:103], -v[141:142]
	v_fma_f64 v[20:21], v[32:33], v[118:119], -v[34:35]
	v_fma_f64 v[26:27], v[36:37], v[108:109], v[124:125]
	v_fma_f64 v[36:37], v[36:37], v[110:111], -v[38:39]
	v_fma_f64 v[14:15], v[28:29], v[120:121], v[131:132]
	v_fma_f64 v[18:19], v[28:29], v[122:123], -v[30:31]
	s_mov_b32 s17, 0x3fe14ced
	s_mov_b32 s9, 0xbfeeb42a
	;; [unrolled: 1-line block ×3, first 2 shown]
	v_fma_f64 v[34:35], v[24:25], v[96:97], v[129:130]
	s_mov_b32 s18, 0x43842ef
	s_mov_b32 s10, 0x8764f0ba
	;; [unrolled: 1-line block ×4, first 2 shown]
	v_add_f64 v[32:33], v[80:81], -v[2:3]
	v_fma_f64 v[28:29], v[12:13], v[92:93], v[88:89]
	v_fma_f64 v[10:11], v[16:17], v[112:113], v[90:91]
	v_fma_f64 v[30:31], v[12:13], v[94:95], -v[100:101]
	v_fma_f64 v[12:13], v[16:17], v[114:115], -v[143:144]
	;; [unrolled: 1-line block ×4, first 2 shown]
	v_add_f64 v[38:39], v[84:85], -v[6:7]
	v_add_f64 v[86:87], v[82:83], -v[0:1]
	v_add_f64 v[88:89], v[82:83], v[0:1]
	v_add_f64 v[114:115], v[80:81], v[2:3]
	s_mov_b32 s11, 0x3feaeb8c
	s_mov_b32 s3, 0xbfe4f49e
	;; [unrolled: 1-line block ×4, first 2 shown]
	v_fma_f64 v[24:25], v[24:25], v[98:99], -v[133:134]
	v_add_f64 v[126:127], v[84:85], v[6:7]
	v_add_f64 v[92:93], v[34:35], -v[14:15]
	s_mov_b32 s0, 0x640f44db
	s_mov_b32 s1, 0xbfc2375f
	s_mov_b32 s27, 0x3fed1bb4
	s_mov_b32 s26, 0x8eee2c13
	v_mul_f64 v[8:9], v[32:33], s[24:25]
	v_mul_f64 v[137:138], v[32:33], s[20:21]
	v_add_f64 v[94:95], v[28:29], -v[10:11]
	v_mul_f64 v[171:172], v[32:33], s[18:19]
	v_add_f64 v[100:101], v[30:31], -v[12:13]
	v_add_f64 v[108:109], v[30:31], v[12:13]
	v_add_f64 v[102:103], v[16:17], -v[4:5]
	v_add_f64 v[110:111], v[16:17], v[4:5]
	v_mul_f64 v[116:117], v[38:39], s[16:17]
	v_mul_f64 v[118:119], v[86:87], s[24:25]
	;; [unrolled: 1-line block ×5, first 2 shown]
	s_mov_b32 s35, 0x3fd207e7
	s_mov_b32 s34, s24
	;; [unrolled: 1-line block ×4, first 2 shown]
	v_add_f64 v[90:91], v[26:27], -v[22:23]
	v_add_f64 v[98:99], v[24:25], -v[18:19]
	v_add_f64 v[106:107], v[24:25], v[18:19]
	v_add_f64 v[122:123], v[28:29], v[10:11]
	;; [unrolled: 1-line block ×3, first 2 shown]
	v_fma_f64 v[124:125], v[88:89], s[8:9], v[8:9]
	v_fma_f64 v[8:9], v[88:89], s[8:9], -v[8:9]
	v_mul_f64 v[133:134], v[94:95], s[20:21]
	v_fma_f64 v[175:176], v[88:89], s[2:3], v[137:138]
	v_add_f64 v[80:81], v[76:77], v[80:81]
	v_mul_f64 v[131:132], v[92:93], s[26:27]
	v_mul_f64 v[143:144], v[102:103], s[16:17]
	;; [unrolled: 1-line block ×3, first 2 shown]
	v_fma_f64 v[157:158], v[110:111], s[10:11], v[116:117]
	v_fma_f64 v[159:160], v[114:115], s[8:9], -v[118:119]
	v_fma_f64 v[118:119], v[114:115], s[8:9], v[118:119]
	v_mul_f64 v[165:166], v[102:103], s[28:29]
	v_mul_f64 v[173:174], v[38:39], s[34:35]
	v_fma_f64 v[189:190], v[114:115], s[2:3], -v[151:152]
	v_fma_f64 v[116:117], v[110:111], s[10:11], -v[116:117]
	;; [unrolled: 1-line block ×3, first 2 shown]
	v_fma_f64 v[151:152], v[114:115], s[2:3], v[151:152]
	v_mul_f64 v[149:150], v[94:95], s[30:31]
	v_mul_f64 v[181:182], v[102:103], s[34:35]
	v_fma_f64 v[191:192], v[110:111], s[0:1], v[153:154]
	v_fma_f64 v[201:202], v[114:115], s[0:1], -v[183:184]
	s_mov_b32 s22, 0xd9c712b6
	v_add_f64 v[124:125], v[78:79], v[124:125]
	v_add_f64 v[8:9], v[78:79], v[8:9]
	v_fma_f64 v[185:186], v[108:109], s[2:3], v[133:134]
	v_add_f64 v[175:176], v[78:79], v[175:176]
	s_mov_b32 s23, 0x3fda9628
	v_add_f64 v[104:105], v[36:37], v[20:21]
	v_fma_f64 v[187:188], v[126:127], s[10:11], -v[143:144]
	v_fma_f64 v[143:144], v[126:127], s[10:11], v[143:144]
	v_add_f64 v[120:121], v[34:35], v[14:15]
	v_add_f64 v[159:160], v[76:77], v[159:160]
	;; [unrolled: 1-line block ×3, first 2 shown]
	v_mul_f64 v[129:130], v[90:91], s[18:19]
	v_mul_f64 v[139:140], v[98:99], s[26:27]
	;; [unrolled: 1-line block ×4, first 2 shown]
	v_add_f64 v[16:17], v[82:83], v[16:17]
	v_add_f64 v[80:81], v[80:81], v[84:85]
	v_fma_f64 v[84:85], v[106:107], s[22:23], v[131:132]
	v_fma_f64 v[195:196], v[122:123], s[2:3], -v[141:142]
	v_fma_f64 v[133:134], v[108:109], s[2:3], -v[133:134]
	v_fma_f64 v[141:142], v[122:123], s[2:3], v[141:142]
	v_fma_f64 v[203:204], v[126:127], s[0:1], -v[165:166]
	v_add_f64 v[124:125], v[157:158], v[124:125]
	v_fma_f64 v[157:158], v[88:89], s[0:1], v[171:172]
	v_add_f64 v[189:190], v[76:77], v[189:190]
	v_fma_f64 v[153:154], v[110:111], s[0:1], -v[153:154]
	v_fma_f64 v[165:166], v[126:127], s[0:1], v[165:166]
	v_add_f64 v[137:138], v[78:79], v[137:138]
	v_add_f64 v[8:9], v[116:117], v[8:9]
	v_mul_f64 v[179:180], v[100:101], s[26:27]
	v_add_f64 v[175:176], v[191:192], v[175:176]
	v_add_f64 v[159:160], v[187:188], v[159:160]
	;; [unrolled: 1-line block ×3, first 2 shown]
	v_fma_f64 v[187:188], v[126:127], s[8:9], -v[181:182]
	v_add_f64 v[191:192], v[76:77], v[201:202]
	v_add_f64 v[96:97], v[36:37], -v[20:21]
	v_mul_f64 v[147:148], v[92:93], s[24:25]
	v_mul_f64 v[161:162], v[98:99], s[24:25]
	;; [unrolled: 1-line block ×3, first 2 shown]
	v_fma_f64 v[82:83], v[104:105], s[0:1], v[129:130]
	v_fma_f64 v[143:144], v[120:121], s[22:23], -v[139:140]
	v_fma_f64 v[131:132], v[106:107], s[22:23], -v[131:132]
	v_fma_f64 v[139:140], v[120:121], s[22:23], v[139:140]
	v_fma_f64 v[201:202], v[122:123], s[10:11], -v[163:164]
	v_add_f64 v[118:119], v[185:186], v[124:125]
	v_add_f64 v[124:125], v[76:77], v[151:152]
	v_fma_f64 v[151:152], v[110:111], s[8:9], v[173:174]
	v_add_f64 v[157:158], v[78:79], v[157:158]
	v_fma_f64 v[185:186], v[108:109], s[10:11], v[149:150]
	v_fma_f64 v[149:150], v[108:109], s[10:11], -v[149:150]
	v_add_f64 v[189:190], v[203:204], v[189:190]
	v_fma_f64 v[163:164], v[122:123], s[10:11], v[163:164]
	v_add_f64 v[137:138], v[153:154], v[137:138]
	v_add_f64 v[153:154], v[195:196], v[159:160]
	;; [unrolled: 1-line block ×4, first 2 shown]
	v_fma_f64 v[141:142], v[114:115], s[0:1], v[183:184]
	v_fma_f64 v[159:160], v[108:109], s[22:23], v[169:170]
	v_add_f64 v[16:17], v[16:17], v[30:31]
	v_add_f64 v[28:29], v[80:81], v[28:29]
	v_mul_f64 v[177:178], v[98:99], s[30:31]
	v_add_f64 v[183:184], v[187:188], v[191:192]
	v_mul_f64 v[145:146], v[90:91], s[26:27]
	v_mul_f64 v[155:156], v[96:97], s[26:27]
	s_mov_b32 s27, 0xbfed1bb4
	v_add_f64 v[112:113], v[26:27], v[22:23]
	v_add_f64 v[84:85], v[84:85], v[118:119]
	;; [unrolled: 1-line block ×3, first 2 shown]
	v_fma_f64 v[133:134], v[106:107], s[8:9], v[147:148]
	v_add_f64 v[151:152], v[151:152], v[157:158]
	v_add_f64 v[165:166], v[185:186], v[175:176]
	v_fma_f64 v[175:176], v[122:123], s[22:23], -v[179:180]
	v_fma_f64 v[157:158], v[120:121], s[8:9], -v[161:162]
	;; [unrolled: 1-line block ×3, first 2 shown]
	v_add_f64 v[30:31], v[201:202], v[189:190]
	v_add_f64 v[137:138], v[149:150], v[137:138]
	v_add_f64 v[131:132], v[131:132], v[8:9]
	v_add_f64 v[116:117], v[139:140], v[116:117]
	v_add_f64 v[139:140], v[76:77], v[141:142]
	v_fma_f64 v[141:142], v[106:107], s[10:11], v[167:168]
	v_add_f64 v[16:17], v[16:17], v[24:25]
	v_add_f64 v[24:25], v[28:29], v[34:35]
	v_fma_f64 v[171:172], v[88:89], s[0:1], -v[171:172]
	v_fma_f64 v[161:162], v[120:121], s[8:9], v[161:162]
	v_mul_f64 v[28:29], v[86:87], s[30:31]
	v_mul_f64 v[34:35], v[86:87], s[26:27]
	v_fma_f64 v[173:174], v[110:111], s[8:9], -v[173:174]
	v_fma_f64 v[124:125], v[104:105], s[22:23], v[145:146]
	v_add_f64 v[8:9], v[82:83], v[84:85]
	v_add_f64 v[82:83], v[163:164], v[118:119]
	v_fma_f64 v[118:119], v[126:127], s[8:9], v[181:182]
	v_add_f64 v[149:150], v[159:160], v[151:152]
	v_mul_f64 v[151:152], v[32:33], s[26:27]
	v_fma_f64 v[159:160], v[120:121], s[10:11], -v[177:178]
	v_add_f64 v[163:164], v[175:176], v[183:184]
	v_mul_f64 v[32:33], v[32:33], s[30:31]
	v_add_f64 v[133:134], v[133:134], v[165:166]
	v_fma_f64 v[165:166], v[112:113], s[22:23], -v[155:156]
	v_add_f64 v[30:31], v[157:158], v[30:31]
	v_add_f64 v[137:138], v[147:148], v[137:138]
	v_fma_f64 v[147:148], v[112:113], s[22:23], v[155:156]
	v_fma_f64 v[155:156], v[122:123], s[22:23], v[179:180]
	v_add_f64 v[16:17], v[16:17], v[36:37]
	v_add_f64 v[24:25], v[24:25], v[26:27]
	;; [unrolled: 1-line block ×3, first 2 shown]
	v_fma_f64 v[86:87], v[104:105], s[22:23], -v[145:146]
	v_fma_f64 v[26:27], v[114:115], s[10:11], v[28:29]
	v_fma_f64 v[36:37], v[114:115], s[22:23], v[34:35]
	v_fma_f64 v[34:35], v[114:115], s[22:23], -v[34:35]
	v_fma_f64 v[28:29], v[114:115], s[10:11], -v[28:29]
	v_mul_f64 v[114:115], v[94:95], s[34:35]
	v_add_f64 v[82:83], v[161:162], v[82:83]
	v_add_f64 v[118:119], v[118:119], v[139:140]
	;; [unrolled: 1-line block ×3, first 2 shown]
	v_mul_f64 v[149:150], v[38:39], s[20:21]
	v_fma_f64 v[157:158], v[88:89], s[22:23], -v[151:152]
	v_mul_f64 v[161:162], v[102:103], s[20:21]
	v_add_f64 v[159:160], v[159:160], v[163:164]
	v_mul_f64 v[38:39], v[38:39], s[26:27]
	v_fma_f64 v[163:164], v[88:89], s[10:11], -v[32:33]
	v_mul_f64 v[102:103], v[102:103], s[26:27]
	v_fma_f64 v[151:152], v[88:89], s[22:23], v[151:152]
	v_fma_f64 v[32:33], v[88:89], s[10:11], v[32:33]
	v_mul_f64 v[94:95], v[94:95], s[18:19]
	v_add_f64 v[16:17], v[16:17], v[20:21]
	v_add_f64 v[20:21], v[24:25], v[22:23]
	;; [unrolled: 1-line block ×3, first 2 shown]
	v_fma_f64 v[145:146], v[108:109], s[22:23], -v[169:170]
	v_add_f64 v[22:23], v[76:77], v[26:27]
	v_add_f64 v[24:25], v[76:77], v[36:37]
	;; [unrolled: 1-line block ×4, first 2 shown]
	v_mul_f64 v[76:77], v[92:93], s[28:29]
	v_mul_f64 v[92:93], v[92:93], s[20:21]
	v_add_f64 v[88:89], v[155:156], v[118:119]
	v_mul_f64 v[118:119], v[100:101], s[34:35]
	v_fma_f64 v[155:156], v[110:111], s[2:3], -v[149:150]
	v_add_f64 v[157:158], v[78:79], v[157:158]
	v_mul_f64 v[100:101], v[100:101], s[18:19]
	v_fma_f64 v[171:172], v[126:127], s[2:3], v[161:162]
	v_fma_f64 v[173:174], v[110:111], s[22:23], -v[38:39]
	v_add_f64 v[163:164], v[78:79], v[163:164]
	v_fma_f64 v[175:176], v[126:127], s[22:23], v[102:103]
	v_fma_f64 v[26:27], v[110:111], s[2:3], v[149:150]
	v_add_f64 v[36:37], v[78:79], v[151:152]
	v_fma_f64 v[149:150], v[126:127], s[2:3], -v[161:162]
	v_fma_f64 v[38:39], v[110:111], s[22:23], v[38:39]
	v_add_f64 v[32:33], v[78:79], v[32:33]
	v_fma_f64 v[78:79], v[126:127], s[22:23], -v[102:103]
	v_fma_f64 v[110:111], v[108:109], s[8:9], -v[114:115]
	v_add_f64 v[16:17], v[16:17], v[18:19]
	v_add_f64 v[14:15], v[20:21], v[14:15]
	v_mul_f64 v[102:103], v[98:99], s[28:29]
	v_mul_f64 v[98:99], v[98:99], s[20:21]
	v_fma_f64 v[167:168], v[106:107], s[10:11], -v[167:168]
	v_add_f64 v[80:81], v[145:146], v[80:81]
	v_fma_f64 v[145:146], v[120:121], s[10:11], v[177:178]
	v_fma_f64 v[151:152], v[122:123], s[8:9], v[118:119]
	v_mul_f64 v[135:136], v[96:97], s[18:19]
	v_add_f64 v[126:127], v[155:156], v[157:158]
	v_fma_f64 v[155:156], v[108:109], s[0:1], -v[94:95]
	v_fma_f64 v[161:162], v[122:123], s[0:1], v[100:101]
	v_add_f64 v[20:21], v[171:172], v[24:25]
	v_add_f64 v[157:158], v[173:174], v[163:164]
	;; [unrolled: 1-line block ×3, first 2 shown]
	v_fma_f64 v[22:23], v[108:109], s[8:9], v[114:115]
	v_add_f64 v[24:25], v[26:27], v[36:37]
	v_fma_f64 v[26:27], v[122:123], s[8:9], -v[118:119]
	v_add_f64 v[34:35], v[149:150], v[34:35]
	v_fma_f64 v[36:37], v[108:109], s[0:1], v[94:95]
	v_add_f64 v[32:33], v[38:39], v[32:33]
	v_fma_f64 v[38:39], v[122:123], s[0:1], -v[100:101]
	v_add_f64 v[28:29], v[78:79], v[28:29]
	v_fma_f64 v[100:101], v[106:107], s[0:1], -v[76:77]
	v_add_f64 v[12:13], v[16:17], v[12:13]
	v_add_f64 v[10:11], v[14:15], v[10:11]
	;; [unrolled: 1-line block ×3, first 2 shown]
	v_mul_f64 v[84:85], v[90:91], s[20:21]
	v_mul_f64 v[153:154], v[96:97], s[20:21]
	;; [unrolled: 1-line block ×4, first 2 shown]
	v_add_f64 v[108:109], v[110:111], v[126:127]
	v_mul_f64 v[90:91], v[90:91], s[24:25]
	v_mul_f64 v[96:97], v[96:97], s[24:25]
	v_fma_f64 v[114:115], v[106:107], s[2:3], -v[92:93]
	v_add_f64 v[118:119], v[155:156], v[157:158]
	v_fma_f64 v[122:123], v[120:121], s[2:3], v[98:99]
	v_add_f64 v[14:15], v[161:162], v[18:19]
	v_fma_f64 v[110:111], v[120:121], s[0:1], v[102:103]
	;; [unrolled: 2-line block ×3, first 2 shown]
	v_add_f64 v[20:21], v[22:23], v[24:25]
	v_fma_f64 v[22:23], v[120:121], s[0:1], -v[102:103]
	v_add_f64 v[24:25], v[26:27], v[34:35]
	v_fma_f64 v[26:27], v[106:107], s[2:3], v[92:93]
	v_add_f64 v[32:33], v[36:37], v[32:33]
	v_fma_f64 v[34:35], v[120:121], s[2:3], -v[98:99]
	v_add_f64 v[28:29], v[38:39], v[28:29]
	v_add_f64 v[38:39], v[167:168], v[80:81]
	;; [unrolled: 1-line block ×4, first 2 shown]
	v_fma_f64 v[139:140], v[104:105], s[2:3], v[84:85]
	v_fma_f64 v[36:37], v[104:105], s[2:3], -v[84:85]
	v_add_f64 v[88:89], v[100:101], v[108:109]
	v_add_f64 v[108:109], v[10:11], v[6:7]
	v_fma_f64 v[98:99], v[104:105], s[8:9], -v[90:91]
	v_fma_f64 v[102:103], v[112:113], s[8:9], v[96:97]
	v_add_f64 v[100:101], v[114:115], v[118:119]
	v_fma_f64 v[84:85], v[104:105], s[10:11], -v[78:79]
	v_add_f64 v[114:115], v[122:123], v[14:15]
	v_fma_f64 v[92:93], v[112:113], s[10:11], v[94:95]
	v_add_f64 v[110:111], v[110:111], v[16:17]
	v_fma_f64 v[76:77], v[112:113], s[2:3], v[153:154]
	v_fma_f64 v[193:194], v[112:113], s[0:1], -v[135:136]
	v_fma_f64 v[129:130], v[104:105], s[0:1], -v[129:130]
	v_fma_f64 v[135:136], v[112:113], s[0:1], v[135:136]
	v_fma_f64 v[169:170], v[112:113], s[2:3], -v[153:154]
	v_fma_f64 v[78:79], v[104:105], s[10:11], v[78:79]
	v_add_f64 v[118:119], v[18:19], v[20:21]
	v_fma_f64 v[94:95], v[112:113], s[10:11], -v[94:95]
	v_add_f64 v[120:121], v[22:23], v[24:25]
	v_fma_f64 v[90:91], v[104:105], s[8:9], v[90:91]
	v_add_f64 v[104:105], v[26:27], v[32:33]
	v_fma_f64 v[96:97], v[112:113], s[8:9], -v[96:97]
	v_add_f64 v[112:113], v[34:35], v[28:29]
	v_add_f64 v[14:15], v[165:166], v[30:31]
	;; [unrolled: 1-line block ×16, first 2 shown]
	v_mov_b32_e32 v0, 0x8f
	v_add_f64 v[36:37], v[139:140], v[141:142]
	v_add_f64 v[34:35], v[169:170], v[159:160]
	;; [unrolled: 1-line block ×6, first 2 shown]
	v_mul_u32_u24_sdwa v0, v199, v0 dst_sel:DWORD dst_unused:UNUSED_PAD src0_sel:WORD_0 src1_sel:DWORD
	v_add_lshl_u32 v0, v0, v200, 4
	ds_write_b128 v0, v[30:33]
	ds_write_b128 v0, v[26:29] offset:208
	ds_write_b128 v0, v[22:25] offset:416
	;; [unrolled: 1-line block ×10, first 2 shown]
.LBB0_21:
	s_or_b32 exec_lo, exec_lo, s33
	s_waitcnt lgkmcnt(0)
	s_barrier
	buffer_gl0_inv
	ds_read_b128 v[0:3], v197 offset:6864
	ds_read_b128 v[4:7], v197 offset:11440
	ds_read_b128 v[8:11], v197 offset:16016
	ds_read_b128 v[12:15], v197 offset:20592
	ds_read_b128 v[16:19], v197 offset:2288
	ds_read_b128 v[20:23], v197 offset:4576
	ds_read_b128 v[24:27], v197 offset:9152
	ds_read_b128 v[28:31], v197 offset:13728
	ds_read_b128 v[32:35], v197 offset:18304
	ds_read_b128 v[36:39], v197
	s_mov_b32 s8, 0x134454ff
	s_mov_b32 s9, 0xbfee6f0e
	;; [unrolled: 1-line block ×10, first 2 shown]
	s_waitcnt lgkmcnt(9)
	v_mul_f64 v[76:77], v[50:51], v[0:1]
	s_waitcnt lgkmcnt(8)
	v_mul_f64 v[78:79], v[46:47], v[4:5]
	;; [unrolled: 2-line block ×5, first 2 shown]
	v_mul_f64 v[50:51], v[50:51], v[2:3]
	v_mul_f64 v[46:47], v[46:47], v[6:7]
	;; [unrolled: 1-line block ×4, first 2 shown]
	s_waitcnt lgkmcnt(4)
	v_mul_f64 v[86:87], v[74:75], v[22:23]
	v_mul_f64 v[74:75], v[74:75], v[20:21]
	s_waitcnt lgkmcnt(3)
	v_mul_f64 v[88:89], v[70:71], v[26:27]
	v_mul_f64 v[70:71], v[70:71], v[24:25]
	s_waitcnt lgkmcnt(2)
	v_mul_f64 v[90:91], v[66:67], v[30:31]
	s_waitcnt lgkmcnt(1)
	v_mul_f64 v[92:93], v[62:63], v[32:33]
	v_mul_f64 v[66:67], v[66:67], v[28:29]
	;; [unrolled: 1-line block ×4, first 2 shown]
	s_mov_b32 s18, 0x9b97f4a8
	s_mov_b32 s19, 0x3fe9e377
	s_mov_b32 s21, 0xbfd3c6ef
	s_mov_b32 s20, s0
	v_fma_f64 v[2:3], v[48:49], v[2:3], -v[76:77]
	v_fma_f64 v[6:7], v[44:45], v[6:7], -v[78:79]
	;; [unrolled: 1-line block ×5, first 2 shown]
	v_fma_f64 v[0:1], v[48:49], v[0:1], v[50:51]
	v_fma_f64 v[4:5], v[44:45], v[4:5], v[46:47]
	;; [unrolled: 1-line block ×5, first 2 shown]
	v_fma_f64 v[22:23], v[72:73], v[22:23], -v[74:75]
	v_fma_f64 v[24:25], v[68:69], v[24:25], v[88:89]
	v_fma_f64 v[26:27], v[68:69], v[26:27], -v[70:71]
	v_fma_f64 v[28:29], v[64:65], v[28:29], v[90:91]
	v_fma_f64 v[34:35], v[60:61], v[34:35], -v[92:93]
	v_fma_f64 v[30:31], v[64:65], v[30:31], -v[66:67]
	v_fma_f64 v[32:33], v[60:61], v[32:33], v[62:63]
	v_fma_f64 v[16:17], v[40:41], v[16:17], v[42:43]
	s_mov_b32 s23, 0xbfe9e377
	s_mov_b32 s22, s18
	v_add_f64 v[84:85], v[2:3], -v[6:7]
	v_add_f64 v[44:45], v[6:7], v[10:11]
	v_add_f64 v[46:47], v[2:3], v[14:15]
	v_add_f64 v[82:83], v[2:3], -v[14:15]
	v_add_f64 v[86:87], v[14:15], -v[10:11]
	;; [unrolled: 1-line block ×3, first 2 shown]
	v_add_f64 v[56:57], v[4:5], v[8:9]
	v_add_f64 v[58:59], v[0:1], v[12:13]
	v_add_f64 v[60:61], v[0:1], -v[12:13]
	v_add_f64 v[62:63], v[4:5], -v[8:9]
	s_waitcnt lgkmcnt(0)
	v_add_f64 v[40:41], v[36:37], v[20:21]
	v_add_f64 v[52:53], v[20:21], -v[24:25]
	v_add_f64 v[42:43], v[24:25], v[28:29]
	v_add_f64 v[80:81], v[22:23], v[34:35]
	;; [unrolled: 1-line block ×3, first 2 shown]
	v_add_f64 v[54:55], v[32:33], -v[28:29]
	v_add_f64 v[64:65], v[20:21], v[32:33]
	v_add_f64 v[88:89], v[6:7], -v[2:3]
	v_add_f64 v[90:91], v[10:11], -v[14:15]
	v_add_f64 v[70:71], v[38:39], v[22:23]
	v_add_f64 v[2:3], v[18:19], v[2:3]
	v_add_f64 v[48:49], v[22:23], -v[34:35]
	v_add_f64 v[50:51], v[26:27], -v[30:31]
	v_fma_f64 v[44:45], v[44:45], -0.5, v[18:19]
	v_fma_f64 v[46:47], v[46:47], -0.5, v[18:19]
	v_add_f64 v[66:67], v[24:25], -v[20:21]
	v_add_f64 v[68:69], v[28:29], -v[32:33]
	;; [unrolled: 1-line block ×3, first 2 shown]
	v_fma_f64 v[56:57], v[56:57], -0.5, v[16:17]
	v_fma_f64 v[58:59], v[58:59], -0.5, v[16:17]
	v_add_f64 v[16:17], v[16:17], v[0:1]
	v_add_f64 v[74:75], v[24:25], -v[28:29]
	v_add_f64 v[100:101], v[0:1], -v[4:5]
	;; [unrolled: 1-line block ×5, first 2 shown]
	v_fma_f64 v[18:19], v[42:43], -0.5, v[36:37]
	v_add_f64 v[24:25], v[40:41], v[24:25]
	v_fma_f64 v[36:37], v[64:65], -0.5, v[36:37]
	v_add_f64 v[40:41], v[52:53], v[54:55]
	v_fma_f64 v[42:43], v[72:73], -0.5, v[38:39]
	v_fma_f64 v[38:39], v[80:81], -0.5, v[38:39]
	v_add_f64 v[52:53], v[84:85], v[86:87]
	v_add_f64 v[54:55], v[88:89], v[90:91]
	v_add_f64 v[76:77], v[22:23], -v[26:27]
	v_fma_f64 v[96:97], v[60:61], s[2:3], v[44:45]
	v_fma_f64 v[98:99], v[62:63], s[8:9], v[46:47]
	;; [unrolled: 1-line block ×4, first 2 shown]
	v_add_f64 v[22:23], v[26:27], -v[22:23]
	v_fma_f64 v[64:65], v[82:83], s[8:9], v[56:57]
	v_fma_f64 v[72:73], v[92:93], s[2:3], v[58:59]
	;; [unrolled: 1-line block ×4, first 2 shown]
	v_add_f64 v[26:27], v[70:71], v[26:27]
	v_add_f64 v[4:5], v[16:17], v[4:5]
	;; [unrolled: 1-line block ×3, first 2 shown]
	v_add_f64 v[78:79], v[34:35], -v[30:31]
	v_add_f64 v[16:17], v[100:101], v[102:103]
	v_add_f64 v[0:1], v[0:1], v[104:105]
	v_fma_f64 v[6:7], v[48:49], s[8:9], v[18:19]
	v_fma_f64 v[18:19], v[48:49], s[2:3], v[18:19]
	v_add_f64 v[94:95], v[30:31], -v[34:35]
	v_add_f64 v[24:25], v[24:25], v[28:29]
	v_fma_f64 v[80:81], v[62:63], s[16:17], v[96:97]
	v_fma_f64 v[84:85], v[60:61], s[16:17], v[98:99]
	;; [unrolled: 1-line block ×4, first 2 shown]
	v_add_f64 v[60:61], v[66:67], v[68:69]
	v_fma_f64 v[62:63], v[50:51], s[2:3], v[36:37]
	v_fma_f64 v[36:37], v[50:51], s[8:9], v[36:37]
	v_fma_f64 v[66:67], v[20:21], s[2:3], v[42:43]
	v_fma_f64 v[42:43], v[20:21], s[8:9], v[42:43]
	v_fma_f64 v[68:69], v[74:75], s[8:9], v[38:39]
	v_fma_f64 v[38:39], v[74:75], s[2:3], v[38:39]
	v_fma_f64 v[64:65], v[92:93], s[10:11], v[64:65]
	v_fma_f64 v[70:71], v[82:83], s[10:11], v[72:73]
	v_fma_f64 v[58:59], v[82:83], s[16:17], v[58:59]
	v_fma_f64 v[56:57], v[92:93], s[16:17], v[56:57]
	v_add_f64 v[26:27], v[26:27], v[30:31]
	v_add_f64 v[4:5], v[4:5], v[8:9]
	v_add_f64 v[2:3], v[2:3], v[10:11]
	v_fma_f64 v[6:7], v[50:51], s[10:11], v[6:7]
	v_fma_f64 v[8:9], v[50:51], s[16:17], v[18:19]
	v_add_f64 v[22:23], v[22:23], v[94:95]
	v_add_f64 v[24:25], v[24:25], v[32:33]
	v_fma_f64 v[72:73], v[52:53], s[0:1], v[80:81]
	v_fma_f64 v[80:81], v[54:55], s[0:1], v[84:85]
	;; [unrolled: 1-line block ×4, first 2 shown]
	v_add_f64 v[52:53], v[76:77], v[78:79]
	v_fma_f64 v[10:11], v[48:49], s[10:11], v[62:63]
	v_fma_f64 v[18:19], v[48:49], s[16:17], v[36:37]
	;; [unrolled: 1-line block ×10, first 2 shown]
	v_add_f64 v[26:27], v[26:27], v[34:35]
	v_add_f64 v[4:5], v[4:5], v[12:13]
	;; [unrolled: 1-line block ×3, first 2 shown]
	v_fma_f64 v[32:33], v[40:41], s[0:1], v[6:7]
	v_fma_f64 v[34:35], v[40:41], s[0:1], v[8:9]
	v_mul_f64 v[48:49], v[72:73], s[10:11]
	v_mul_f64 v[58:59], v[72:73], s[18:19]
	;; [unrolled: 1-line block ×8, first 2 shown]
	v_fma_f64 v[64:65], v[52:53], s[0:1], v[28:29]
	v_fma_f64 v[40:41], v[60:61], s[0:1], v[10:11]
	;; [unrolled: 1-line block ×6, first 2 shown]
	v_add_f64 v[2:3], v[26:27], v[12:13]
	v_add_f64 v[6:7], v[26:27], -v[12:13]
	v_fma_f64 v[28:29], v[38:39], s[18:19], v[48:49]
	v_fma_f64 v[38:39], v[38:39], s[16:17], v[58:59]
	;; [unrolled: 1-line block ×8, first 2 shown]
	v_add_f64 v[0:1], v[24:25], v[4:5]
	v_add_f64 v[4:5], v[24:25], -v[4:5]
	v_add_f64 v[8:9], v[32:33], v[28:29]
	v_add_f64 v[10:11], v[64:65], v[38:39]
	;; [unrolled: 1-line block ×8, first 2 shown]
	v_add_f64 v[24:25], v[32:33], -v[28:29]
	v_add_f64 v[26:27], v[64:65], -v[38:39]
	;; [unrolled: 1-line block ×8, first 2 shown]
	ds_write_b128 v197, v[0:3]
	ds_write_b128 v197, v[4:7] offset:11440
	ds_write_b128 v197, v[8:11] offset:2288
	;; [unrolled: 1-line block ×9, first 2 shown]
	s_waitcnt lgkmcnt(0)
	s_barrier
	buffer_gl0_inv
	s_and_b32 exec_lo, exec_lo, vcc_lo
	s_cbranch_execz .LBB0_23
; %bb.22:
	v_add_co_u32 v4, s0, s14, v197
	v_add_co_ci_u32_e64 v5, null, s15, 0, s0
	s_clause 0x1
	global_load_dwordx4 v[0:3], v197, s[14:15]
	global_load_dwordx4 v[6:9], v197, s[14:15] offset:1760
	v_add_co_u32 v10, vcc_lo, 0x800, v4
	v_add_co_ci_u32_e32 v11, vcc_lo, 0, v5, vcc_lo
	v_add_co_u32 v14, vcc_lo, 0x1000, v4
	v_add_co_ci_u32_e32 v15, vcc_lo, 0, v5, vcc_lo
	v_add_co_u32 v18, vcc_lo, 0x1800, v4
	v_add_co_ci_u32_e32 v19, vcc_lo, 0, v5, vcc_lo
	v_add_co_u32 v22, vcc_lo, 0x2000, v4
	v_add_co_ci_u32_e32 v23, vcc_lo, 0, v5, vcc_lo
	v_add_co_u32 v26, vcc_lo, 0x2800, v4
	v_add_co_ci_u32_e32 v27, vcc_lo, 0, v5, vcc_lo
	v_add_co_u32 v34, vcc_lo, 0x3000, v4
	v_add_co_ci_u32_e32 v35, vcc_lo, 0, v5, vcc_lo
	v_add_co_u32 v38, vcc_lo, 0x3800, v4
	v_add_co_ci_u32_e32 v39, vcc_lo, 0, v5, vcc_lo
	v_add_co_u32 v42, vcc_lo, 0x4000, v4
	v_add_co_ci_u32_e32 v43, vcc_lo, 0, v5, vcc_lo
	v_add_co_u32 v46, vcc_lo, 0x4800, v4
	s_clause 0x6
	global_load_dwordx4 v[10:13], v[10:11], off offset:1472
	global_load_dwordx4 v[14:17], v[14:15], off offset:1184
	;; [unrolled: 1-line block ×7, first 2 shown]
	v_add_co_ci_u32_e32 v47, vcc_lo, 0, v5, vcc_lo
	s_clause 0x2
	global_load_dwordx4 v[38:41], v[38:39], off offset:1504
	global_load_dwordx4 v[42:45], v[42:43], off offset:1216
	;; [unrolled: 1-line block ×3, first 2 shown]
	v_mad_u64_u32 v[50:51], null, s6, v128, 0
	v_mad_u64_u32 v[52:53], null, s4, v198, 0
	s_mul_i32 s0, s5, 0x6e0
	s_mul_hi_u32 s1, s4, 0x6e0
	s_mul_i32 s2, s4, 0x6e0
	s_add_i32 s3, s1, s0
	s_mov_b32 s0, 0xd118b474
	s_mov_b32 s1, 0x3f46ea28
	v_mad_u64_u32 v[54:55], null, s7, v128, v[51:52]
	v_mad_u64_u32 v[55:56], null, s5, v198, v[53:54]
	v_mov_b32_e32 v51, v54
	v_lshlrev_b64 v[50:51], 4, v[50:51]
	v_mov_b32_e32 v53, v55
	v_lshlrev_b64 v[52:53], 4, v[52:53]
	v_add_co_u32 v50, vcc_lo, s12, v50
	v_add_co_ci_u32_e32 v51, vcc_lo, s13, v51, vcc_lo
	v_add_co_u32 v102, vcc_lo, v50, v52
	v_add_co_ci_u32_e32 v103, vcc_lo, v51, v53, vcc_lo
	ds_read_b128 v[50:53], v197
	ds_read_b128 v[54:57], v197 offset:1760
	ds_read_b128 v[58:61], v197 offset:3520
	;; [unrolled: 1-line block ×11, first 2 shown]
	v_add_co_u32 v104, vcc_lo, v102, s2
	v_add_co_ci_u32_e32 v105, vcc_lo, s3, v103, vcc_lo
	ds_read_b128 v[98:101], v197 offset:21120
	v_add_co_u32 v106, vcc_lo, v104, s2
	v_add_co_ci_u32_e32 v107, vcc_lo, s3, v105, vcc_lo
	v_add_co_u32 v108, vcc_lo, v106, s2
	v_add_co_ci_u32_e32 v109, vcc_lo, s3, v107, vcc_lo
	;; [unrolled: 2-line block ×8, first 2 shown]
	s_waitcnt vmcnt(11) lgkmcnt(12)
	v_mul_f64 v[122:123], v[52:53], v[2:3]
	v_mul_f64 v[2:3], v[50:51], v[2:3]
	s_waitcnt vmcnt(10) lgkmcnt(11)
	v_mul_f64 v[124:125], v[56:57], v[8:9]
	v_mul_f64 v[8:9], v[54:55], v[8:9]
	v_fma_f64 v[50:51], v[50:51], v[0:1], v[122:123]
	v_fma_f64 v[2:3], v[0:1], v[52:53], -v[2:3]
	v_fma_f64 v[52:53], v[54:55], v[6:7], v[124:125]
	v_fma_f64 v[8:9], v[6:7], v[56:57], -v[8:9]
	s_waitcnt vmcnt(9) lgkmcnt(10)
	v_mul_f64 v[126:127], v[60:61], v[12:13]
	v_mul_f64 v[12:13], v[58:59], v[12:13]
	s_waitcnt vmcnt(8) lgkmcnt(9)
	v_mul_f64 v[128:129], v[64:65], v[16:17]
	v_mul_f64 v[16:17], v[62:63], v[16:17]
	;; [unrolled: 3-line block ×10, first 2 shown]
	v_mul_f64 v[0:1], v[50:51], s[0:1]
	v_mul_f64 v[2:3], v[2:3], s[0:1]
	v_fma_f64 v[54:55], v[58:59], v[10:11], v[126:127]
	v_fma_f64 v[12:13], v[10:11], v[60:61], -v[12:13]
	v_fma_f64 v[56:57], v[62:63], v[14:15], v[128:129]
	v_fma_f64 v[16:17], v[14:15], v[64:65], -v[16:17]
	;; [unrolled: 2-line block ×10, first 2 shown]
	v_mul_f64 v[6:7], v[52:53], s[0:1]
	v_mul_f64 v[8:9], v[8:9], s[0:1]
	;; [unrolled: 1-line block ×22, first 2 shown]
	v_add_co_u32 v50, vcc_lo, v120, s2
	v_add_co_ci_u32_e32 v51, vcc_lo, s3, v121, vcc_lo
	v_add_co_u32 v4, vcc_lo, 0x5000, v4
	v_add_co_ci_u32_e32 v5, vcc_lo, 0, v5, vcc_lo
	;; [unrolled: 2-line block ×3, first 2 shown]
	global_store_dwordx4 v[102:103], v[0:3], off
	global_store_dwordx4 v[104:105], v[6:9], off
	;; [unrolled: 1-line block ×12, first 2 shown]
	global_load_dwordx4 v[0:3], v[4:5], off offset:640
	s_waitcnt vmcnt(0) lgkmcnt(0)
	v_mul_f64 v[4:5], v[100:101], v[2:3]
	v_mul_f64 v[2:3], v[98:99], v[2:3]
	v_fma_f64 v[4:5], v[98:99], v[0:1], v[4:5]
	v_fma_f64 v[2:3], v[0:1], v[100:101], -v[2:3]
	v_mul_f64 v[0:1], v[4:5], s[0:1]
	v_mul_f64 v[2:3], v[2:3], s[0:1]
	v_add_co_u32 v4, vcc_lo, v52, s2
	v_add_co_ci_u32_e32 v5, vcc_lo, s3, v53, vcc_lo
	global_store_dwordx4 v[4:5], v[0:3], off
.LBB0_23:
	s_endpgm
	.section	.rodata,"a",@progbits
	.p2align	6, 0x0
	.amdhsa_kernel bluestein_single_fwd_len1430_dim1_dp_op_CI_CI
		.amdhsa_group_segment_fixed_size 22880
		.amdhsa_private_segment_fixed_size 0
		.amdhsa_kernarg_size 104
		.amdhsa_user_sgpr_count 6
		.amdhsa_user_sgpr_private_segment_buffer 1
		.amdhsa_user_sgpr_dispatch_ptr 0
		.amdhsa_user_sgpr_queue_ptr 0
		.amdhsa_user_sgpr_kernarg_segment_ptr 1
		.amdhsa_user_sgpr_dispatch_id 0
		.amdhsa_user_sgpr_flat_scratch_init 0
		.amdhsa_user_sgpr_private_segment_size 0
		.amdhsa_wavefront_size32 1
		.amdhsa_uses_dynamic_stack 0
		.amdhsa_system_sgpr_private_segment_wavefront_offset 0
		.amdhsa_system_sgpr_workgroup_id_x 1
		.amdhsa_system_sgpr_workgroup_id_y 0
		.amdhsa_system_sgpr_workgroup_id_z 0
		.amdhsa_system_sgpr_workgroup_info 0
		.amdhsa_system_vgpr_workitem_id 0
		.amdhsa_next_free_vgpr 240
		.amdhsa_next_free_sgpr 48
		.amdhsa_reserve_vcc 1
		.amdhsa_reserve_flat_scratch 0
		.amdhsa_float_round_mode_32 0
		.amdhsa_float_round_mode_16_64 0
		.amdhsa_float_denorm_mode_32 3
		.amdhsa_float_denorm_mode_16_64 3
		.amdhsa_dx10_clamp 1
		.amdhsa_ieee_mode 1
		.amdhsa_fp16_overflow 0
		.amdhsa_workgroup_processor_mode 1
		.amdhsa_memory_ordered 1
		.amdhsa_forward_progress 0
		.amdhsa_shared_vgpr_count 0
		.amdhsa_exception_fp_ieee_invalid_op 0
		.amdhsa_exception_fp_denorm_src 0
		.amdhsa_exception_fp_ieee_div_zero 0
		.amdhsa_exception_fp_ieee_overflow 0
		.amdhsa_exception_fp_ieee_underflow 0
		.amdhsa_exception_fp_ieee_inexact 0
		.amdhsa_exception_int_div_zero 0
	.end_amdhsa_kernel
	.text
.Lfunc_end0:
	.size	bluestein_single_fwd_len1430_dim1_dp_op_CI_CI, .Lfunc_end0-bluestein_single_fwd_len1430_dim1_dp_op_CI_CI
                                        ; -- End function
	.section	.AMDGPU.csdata,"",@progbits
; Kernel info:
; codeLenInByte = 22048
; NumSgprs: 50
; NumVgprs: 240
; ScratchSize: 0
; MemoryBound: 0
; FloatMode: 240
; IeeeMode: 1
; LDSByteSize: 22880 bytes/workgroup (compile time only)
; SGPRBlocks: 6
; VGPRBlocks: 29
; NumSGPRsForWavesPerEU: 50
; NumVGPRsForWavesPerEU: 240
; Occupancy: 4
; WaveLimiterHint : 1
; COMPUTE_PGM_RSRC2:SCRATCH_EN: 0
; COMPUTE_PGM_RSRC2:USER_SGPR: 6
; COMPUTE_PGM_RSRC2:TRAP_HANDLER: 0
; COMPUTE_PGM_RSRC2:TGID_X_EN: 1
; COMPUTE_PGM_RSRC2:TGID_Y_EN: 0
; COMPUTE_PGM_RSRC2:TGID_Z_EN: 0
; COMPUTE_PGM_RSRC2:TIDIG_COMP_CNT: 0
	.text
	.p2alignl 6, 3214868480
	.fill 48, 4, 3214868480
	.type	__hip_cuid_c30958f1cecc2acf,@object ; @__hip_cuid_c30958f1cecc2acf
	.section	.bss,"aw",@nobits
	.globl	__hip_cuid_c30958f1cecc2acf
__hip_cuid_c30958f1cecc2acf:
	.byte	0                               ; 0x0
	.size	__hip_cuid_c30958f1cecc2acf, 1

	.ident	"AMD clang version 19.0.0git (https://github.com/RadeonOpenCompute/llvm-project roc-6.4.0 25133 c7fe45cf4b819c5991fe208aaa96edf142730f1d)"
	.section	".note.GNU-stack","",@progbits
	.addrsig
	.addrsig_sym __hip_cuid_c30958f1cecc2acf
	.amdgpu_metadata
---
amdhsa.kernels:
  - .args:
      - .actual_access:  read_only
        .address_space:  global
        .offset:         0
        .size:           8
        .value_kind:     global_buffer
      - .actual_access:  read_only
        .address_space:  global
        .offset:         8
        .size:           8
        .value_kind:     global_buffer
      - .actual_access:  read_only
        .address_space:  global
        .offset:         16
        .size:           8
        .value_kind:     global_buffer
      - .actual_access:  read_only
        .address_space:  global
        .offset:         24
        .size:           8
        .value_kind:     global_buffer
      - .actual_access:  read_only
        .address_space:  global
        .offset:         32
        .size:           8
        .value_kind:     global_buffer
      - .offset:         40
        .size:           8
        .value_kind:     by_value
      - .address_space:  global
        .offset:         48
        .size:           8
        .value_kind:     global_buffer
      - .address_space:  global
        .offset:         56
        .size:           8
        .value_kind:     global_buffer
      - .address_space:  global
        .offset:         64
        .size:           8
        .value_kind:     global_buffer
      - .address_space:  global
        .offset:         72
        .size:           8
        .value_kind:     global_buffer
      - .offset:         80
        .size:           4
        .value_kind:     by_value
      - .address_space:  global
        .offset:         88
        .size:           8
        .value_kind:     global_buffer
      - .address_space:  global
        .offset:         96
        .size:           8
        .value_kind:     global_buffer
    .group_segment_fixed_size: 22880
    .kernarg_segment_align: 8
    .kernarg_segment_size: 104
    .language:       OpenCL C
    .language_version:
      - 2
      - 0
    .max_flat_workgroup_size: 143
    .name:           bluestein_single_fwd_len1430_dim1_dp_op_CI_CI
    .private_segment_fixed_size: 0
    .sgpr_count:     50
    .sgpr_spill_count: 0
    .symbol:         bluestein_single_fwd_len1430_dim1_dp_op_CI_CI.kd
    .uniform_work_group_size: 1
    .uses_dynamic_stack: false
    .vgpr_count:     240
    .vgpr_spill_count: 0
    .wavefront_size: 32
    .workgroup_processor_mode: 1
amdhsa.target:   amdgcn-amd-amdhsa--gfx1030
amdhsa.version:
  - 1
  - 2
...

	.end_amdgpu_metadata
